;; amdgpu-corpus repo=ROCm/rocFFT kind=compiled arch=gfx906 opt=O3
	.text
	.amdgcn_target "amdgcn-amd-amdhsa--gfx906"
	.amdhsa_code_object_version 6
	.protected	bluestein_single_back_len2028_dim1_half_op_CI_CI ; -- Begin function bluestein_single_back_len2028_dim1_half_op_CI_CI
	.globl	bluestein_single_back_len2028_dim1_half_op_CI_CI
	.p2align	8
	.type	bluestein_single_back_len2028_dim1_half_op_CI_CI,@function
bluestein_single_back_len2028_dim1_half_op_CI_CI: ; @bluestein_single_back_len2028_dim1_half_op_CI_CI
; %bb.0:
	s_load_dwordx4 s[8:11], s[4:5], 0x28
	v_mul_u32_u24_e32 v1, 0x1a5, v0
	v_add_u32_sdwa v24, s6, v1 dst_sel:DWORD dst_unused:UNUSED_PAD src0_sel:DWORD src1_sel:WORD_1
	v_mov_b32_e32 v25, 0
	s_waitcnt lgkmcnt(0)
	v_cmp_gt_u64_e32 vcc, s[8:9], v[24:25]
	s_and_saveexec_b64 s[0:1], vcc
	s_cbranch_execz .LBB0_18
; %bb.1:
	s_load_dwordx4 s[0:3], s[4:5], 0x18
	s_load_dwordx4 s[12:15], s[4:5], 0x0
	s_load_dwordx2 s[6:7], s[4:5], 0x38
	s_movk_i32 s4, 0x1000
	s_mov_b32 s24, 0xbbf1
	s_waitcnt lgkmcnt(0)
	s_load_dwordx4 s[16:19], s[0:1], 0x0
	s_movk_i32 s0, 0x9c
	v_mul_lo_u16_sdwa v1, v1, s0 dst_sel:DWORD dst_unused:UNUSED_PAD src0_sel:WORD_1 src1_sel:DWORD
	v_sub_u16_e32 v58, v0, v1
	v_lshlrev_b32_e32 v47, 2, v58
	s_waitcnt lgkmcnt(0)
	v_mad_u64_u32 v[0:1], s[0:1], s18, v24, 0
	v_mad_u64_u32 v[2:3], s[0:1], s16, v58, 0
	global_load_dword v60, v47, s[12:13]
	s_mul_i32 s5, s16, 0x270
	v_mad_u64_u32 v[4:5], s[0:1], s19, v24, v[1:2]
	s_mov_b32 s18, 0xb9fd
	s_mov_b32 s23, 0xba95
	v_mad_u64_u32 v[5:6], s[0:1], s17, v58, v[3:4]
	v_mov_b32_e32 v1, v4
	v_lshlrev_b64 v[0:1], 2, v[0:1]
	v_mov_b32_e32 v6, s11
	v_mov_b32_e32 v3, v5
	v_add_co_u32_e32 v4, vcc, s10, v0
	v_addc_co_u32_e32 v5, vcc, v6, v1, vcc
	v_lshlrev_b64 v[0:1], 2, v[2:3]
	s_load_dwordx4 s[8:11], s[2:3], 0x0
	v_add_co_u32_e32 v0, vcc, v4, v0
	v_addc_co_u32_e32 v1, vcc, v5, v1, vcc
	global_load_dword v4, v[0:1], off
	v_mov_b32_e32 v2, s13
	v_add_co_u32_e64 v36, s[0:1], s12, v47
	s_mul_i32 s2, s17, 0x270
	s_mul_hi_u32 s3, s16, 0x270
	v_addc_co_u32_e64 v3, vcc, 0, v2, s[0:1]
	s_add_i32 s2, s3, s2
	v_mov_b32_e32 v2, s2
	v_add_co_u32_e32 v0, vcc, s5, v0
	v_addc_co_u32_e32 v1, vcc, v1, v2, vcc
	global_load_dword v61, v47, s[12:13] offset:624
	global_load_dword v59, v47, s[12:13] offset:1248
	;; [unrolled: 1-line block ×6, first 2 shown]
	global_load_dword v5, v[0:1], off
	v_add_co_u32_e32 v2, vcc, s4, v36
	v_addc_co_u32_e32 v3, vcc, 0, v3, vcc
	v_mov_b32_e32 v6, s2
	v_add_co_u32_e32 v0, vcc, s5, v0
	v_addc_co_u32_e32 v1, vcc, v1, v6, vcc
	global_load_dword v6, v[0:1], off
	v_mov_b32_e32 v7, s2
	v_add_co_u32_e32 v0, vcc, s5, v0
	v_addc_co_u32_e32 v1, vcc, v1, v7, vcc
	global_load_dword v7, v[0:1], off
	global_load_dword v53, v[2:3], off offset:272
	v_mov_b32_e32 v8, s2
	v_add_co_u32_e32 v0, vcc, s5, v0
	v_addc_co_u32_e32 v1, vcc, v1, v8, vcc
	global_load_dword v8, v[0:1], off
	v_mov_b32_e32 v9, s2
	v_add_co_u32_e32 v0, vcc, s5, v0
	v_addc_co_u32_e32 v1, vcc, v1, v9, vcc
	global_load_dword v9, v[0:1], off
	v_mov_b32_e32 v10, s2
	v_add_co_u32_e32 v0, vcc, s5, v0
	v_addc_co_u32_e32 v1, vcc, v1, v10, vcc
	global_load_dword v10, v[0:1], off
	v_mov_b32_e32 v11, s2
	v_add_co_u32_e32 v0, vcc, s5, v0
	v_addc_co_u32_e32 v1, vcc, v1, v11, vcc
	global_load_dword v11, v[0:1], off
	v_mov_b32_e32 v12, s2
	v_add_co_u32_e32 v0, vcc, s5, v0
	v_addc_co_u32_e32 v1, vcc, v1, v12, vcc
	global_load_dword v12, v[0:1], off
	global_load_dword v52, v[2:3], off offset:896
	v_add_co_u32_e32 v0, vcc, s5, v0
	v_mov_b32_e32 v16, s2
	v_mov_b32_e32 v17, s2
	s_movk_i32 s3, 0x3b15
	s_movk_i32 s4, 0x2fb7
	s_mov_b32 s12, 0xbb7b
	s_mov_b32 s16, 0xb5ac
	s_mov_b32 s17, 0xb94e
	s_mov_b32 s19, 0x388bb5ac
	s_mov_b32 s20, 0xb3a8
	s_mov_b32 s21, 0xbbc4
	s_mov_b32 s22, 0x2fb7bbc4
	s_mov_b32 s25, 0xb5acb9fd
	s_waitcnt vmcnt(16)
	v_lshrrev_b32_e32 v13, 16, v4
	v_mul_f16_sdwa v15, v60, v13 dst_sel:DWORD dst_unused:UNUSED_PAD src0_sel:WORD_1 src1_sel:DWORD
	v_mul_f16_sdwa v14, v60, v4 dst_sel:DWORD dst_unused:UNUSED_PAD src0_sel:WORD_1 src1_sel:DWORD
	v_fma_f16 v4, v60, v4, v15
	v_mov_b32_e32 v15, s2
	v_addc_co_u32_e32 v1, vcc, v1, v15, vcc
	global_load_dword v15, v[0:1], off
	global_load_dword v51, v[2:3], off offset:1520
	v_add_co_u32_e32 v0, vcc, s5, v0
	v_addc_co_u32_e32 v1, vcc, v1, v16, vcc
	global_load_dword v16, v[0:1], off
	global_load_dword v50, v[2:3], off offset:2144
	v_add_co_u32_e32 v0, vcc, s5, v0
	v_addc_co_u32_e32 v1, vcc, v1, v17, vcc
	global_load_dword v17, v[0:1], off
	global_load_dword v49, v[2:3], off offset:2768
	v_fma_f16 v13, v60, v13, -v14
	v_mov_b32_e32 v14, s2
	v_add_co_u32_e32 v0, vcc, s5, v0
	v_addc_co_u32_e32 v1, vcc, v1, v14, vcc
	global_load_dword v14, v[0:1], off
	global_load_dword v48, v[2:3], off offset:3392
	s_waitcnt vmcnt(17)
	v_lshrrev_b32_e32 v1, 16, v5
	v_mul_f16_sdwa v2, v61, v1 dst_sel:DWORD dst_unused:UNUSED_PAD src0_sel:WORD_1 src1_sel:DWORD
	v_mul_f16_sdwa v3, v61, v5 dst_sel:DWORD dst_unused:UNUSED_PAD src0_sel:WORD_1 src1_sel:DWORD
	v_fma_f16 v2, v61, v5, v2
	v_fma_f16 v1, v61, v1, -v3
	v_pack_b32_f16 v0, v4, v13
	v_pack_b32_f16 v1, v2, v1
	ds_write2_b32 v47, v0, v1 offset1:156
	s_waitcnt vmcnt(16)
	v_lshrrev_b32_e32 v0, 16, v6
	v_mul_f16_sdwa v1, v59, v0 dst_sel:DWORD dst_unused:UNUSED_PAD src0_sel:WORD_1 src1_sel:DWORD
	v_mul_f16_sdwa v2, v59, v6 dst_sel:DWORD dst_unused:UNUSED_PAD src0_sel:WORD_1 src1_sel:DWORD
	v_fma_f16 v1, v59, v6, v1
	v_fma_f16 v0, v59, v0, -v2
	v_pack_b32_f16 v0, v1, v0
	s_waitcnt vmcnt(15)
	v_lshrrev_b32_e32 v1, 16, v7
	v_mul_f16_sdwa v2, v57, v1 dst_sel:DWORD dst_unused:UNUSED_PAD src0_sel:WORD_1 src1_sel:DWORD
	v_mul_f16_sdwa v3, v57, v7 dst_sel:DWORD dst_unused:UNUSED_PAD src0_sel:WORD_1 src1_sel:DWORD
	v_fma_f16 v2, v57, v7, v2
	v_fma_f16 v1, v57, v1, -v3
	v_pack_b32_f16 v1, v2, v1
	v_add_u32_e32 v4, 0x400, v47
	ds_write2_b32 v4, v0, v1 offset0:56 offset1:212
	s_waitcnt vmcnt(13)
	v_lshrrev_b32_e32 v0, 16, v8
	v_mul_f16_sdwa v1, v56, v0 dst_sel:DWORD dst_unused:UNUSED_PAD src0_sel:WORD_1 src1_sel:DWORD
	v_mul_f16_sdwa v2, v56, v8 dst_sel:DWORD dst_unused:UNUSED_PAD src0_sel:WORD_1 src1_sel:DWORD
	v_fma_f16 v1, v56, v8, v1
	v_fma_f16 v0, v56, v0, -v2
	v_pack_b32_f16 v0, v1, v0
	s_waitcnt vmcnt(12)
	v_lshrrev_b32_e32 v1, 16, v9
	v_mul_f16_sdwa v2, v55, v1 dst_sel:DWORD dst_unused:UNUSED_PAD src0_sel:WORD_1 src1_sel:DWORD
	v_mul_f16_sdwa v3, v55, v9 dst_sel:DWORD dst_unused:UNUSED_PAD src0_sel:WORD_1 src1_sel:DWORD
	v_fma_f16 v2, v55, v9, v2
	v_fma_f16 v1, v55, v1, -v3
	v_pack_b32_f16 v1, v2, v1
	v_add_u32_e32 v2, 0x900, v47
	ds_write2_b32 v2, v0, v1 offset0:48 offset1:204
	;; [unrolled: 16-line block ×3, first 2 shown]
	s_waitcnt vmcnt(9)
	v_lshrrev_b32_e32 v0, 16, v12
	s_waitcnt vmcnt(8)
	v_mul_f16_sdwa v1, v52, v0 dst_sel:DWORD dst_unused:UNUSED_PAD src0_sel:WORD_1 src1_sel:DWORD
	v_mul_f16_sdwa v5, v52, v12 dst_sel:DWORD dst_unused:UNUSED_PAD src0_sel:WORD_1 src1_sel:DWORD
	v_fma_f16 v1, v52, v12, v1
	v_fma_f16 v0, v52, v0, -v5
	v_pack_b32_f16 v0, v1, v0
	s_mov_b32 s2, 0xb770
	s_movk_i32 s5, 0x388b
	s_waitcnt vmcnt(7)
	v_lshrrev_b32_e32 v1, 16, v15
	s_waitcnt vmcnt(6)
	v_mul_f16_sdwa v5, v51, v1 dst_sel:DWORD dst_unused:UNUSED_PAD src0_sel:WORD_1 src1_sel:DWORD
	v_mul_f16_sdwa v6, v51, v15 dst_sel:DWORD dst_unused:UNUSED_PAD src0_sel:WORD_1 src1_sel:DWORD
	v_fma_f16 v5, v51, v15, v5
	v_fma_f16 v1, v51, v1, -v6
	v_pack_b32_f16 v1, v5, v1
	v_add_u32_e32 v5, 0x1200, v47
	ds_write2_b32 v5, v0, v1 offset0:96 offset1:252
	s_waitcnt vmcnt(5)
	v_lshrrev_b32_e32 v0, 16, v16
	s_waitcnt vmcnt(4)
	v_mul_f16_sdwa v1, v50, v0 dst_sel:DWORD dst_unused:UNUSED_PAD src0_sel:WORD_1 src1_sel:DWORD
	v_mul_f16_sdwa v6, v50, v16 dst_sel:DWORD dst_unused:UNUSED_PAD src0_sel:WORD_1 src1_sel:DWORD
	v_fma_f16 v1, v50, v16, v1
	v_fma_f16 v0, v50, v0, -v6
	v_pack_b32_f16 v0, v1, v0
	s_waitcnt vmcnt(3)
	v_lshrrev_b32_e32 v1, 16, v17
	s_waitcnt vmcnt(2)
	v_mul_f16_sdwa v6, v49, v1 dst_sel:DWORD dst_unused:UNUSED_PAD src0_sel:WORD_1 src1_sel:DWORD
	v_mul_f16_sdwa v7, v49, v17 dst_sel:DWORD dst_unused:UNUSED_PAD src0_sel:WORD_1 src1_sel:DWORD
	v_fma_f16 v6, v49, v17, v6
	v_fma_f16 v1, v49, v1, -v7
	v_pack_b32_f16 v1, v6, v1
	v_add_u32_e32 v6, 0x1800, v47
	ds_write2_b32 v6, v0, v1 offset0:24 offset1:180
	s_waitcnt vmcnt(1)
	v_lshrrev_b32_e32 v0, 16, v14
	s_waitcnt vmcnt(0)
	v_mul_f16_sdwa v1, v48, v0 dst_sel:DWORD dst_unused:UNUSED_PAD src0_sel:WORD_1 src1_sel:DWORD
	v_mul_f16_sdwa v7, v48, v14 dst_sel:DWORD dst_unused:UNUSED_PAD src0_sel:WORD_1 src1_sel:DWORD
	v_fma_f16 v1, v48, v14, v1
	v_fma_f16 v0, v48, v0, -v7
	v_pack_b32_f16 v0, v1, v0
	ds_write_b32 v47, v0 offset:7488
	v_mul_lo_u16_e32 v0, 13, v58
	s_waitcnt lgkmcnt(0)
	s_barrier
	v_lshlrev_b32_e32 v35, 2, v0
	ds_read2_b32 v[10:11], v4 offset0:56 offset1:212
	ds_read2_b32 v[16:17], v2 offset0:48 offset1:204
	ds_read2_b32 v[0:1], v47 offset1:156
	ds_read2_b32 v[2:3], v3 offset0:40 offset1:196
	ds_read2_b32 v[18:19], v5 offset0:96 offset1:252
	;; [unrolled: 1-line block ×3, first 2 shown]
	ds_read_b32 v7, v47 offset:7488
	s_waitcnt lgkmcnt(4)
	v_pk_add_f16 v5, v0, v1
	v_pk_add_f16 v5, v5, v10
	;; [unrolled: 1-line block ×5, first 2 shown]
	s_waitcnt lgkmcnt(3)
	v_pk_add_f16 v5, v5, v2
	v_pk_add_f16 v5, v5, v3
	s_waitcnt lgkmcnt(2)
	v_pk_add_f16 v5, v5, v18
	v_pk_add_f16 v5, v5, v19
	;; [unrolled: 3-line block ×4, first 2 shown]
	v_pk_add_f16 v1, v1, v7 neg_lo:[0,1] neg_hi:[0,1]
	v_mul_f16_sdwa v7, v1, s2 dst_sel:DWORD dst_unused:UNUSED_PAD src0_sel:WORD_1 src1_sel:DWORD
	v_fma_f16 v8, v5, s3, -v7
	v_fma_f16 v7, v5, s3, v7
	s_mov_b32 s2, 0x3b15388b
	v_add_f16_e32 v12, v0, v7
	v_pk_mul_f16 v7, v5, s2
	s_mov_b32 s2, 0xba95b770
	v_pk_fma_f16 v13, v1, s2, v7 op_sel:[0,0,1] op_sel_hi:[1,1,0] neg_lo:[1,0,0] neg_hi:[1,0,0]
	v_pk_fma_f16 v7, v1, s2, v7 op_sel:[0,0,1] op_sel_hi:[1,1,0]
	s_mov_b32 s2, 0xffff
	v_add_f16_e32 v9, v0, v8
	v_bfi_b32 v8, s2, v7, v13
	v_pk_add_f16 v20, v0, v8 op_sel:[1,0] op_sel_hi:[0,1]
	v_lshrrev_b32_e32 v8, 16, v5
	v_mul_f16_e32 v21, 0xba95, v1
	v_pk_add_f16 v23, v0, v7 op_sel:[1,0] op_sel_hi:[0,1]
	v_fma_f16 v7, v8, s5, -v21
	v_fma_f16 v22, v8, s5, v21
	v_add_f16_sdwa v21, v0, v7 dst_sel:DWORD dst_unused:UNUSED_PAD src0_sel:WORD_1 src1_sel:DWORD
	v_mul_f16_sdwa v7, v1, s24 dst_sel:DWORD dst_unused:UNUSED_PAD src0_sel:WORD_1 src1_sel:DWORD
	v_fma_f16 v25, v5, s4, -v7
	v_mul_f16_e32 v26, 0xbbf1, v1
	v_fma_f16 v7, v5, s4, v7
	v_add_f16_e32 v28, v0, v7
	v_fma_f16 v7, v8, s4, -v26
	v_fma_f16 v27, v8, s4, v26
	v_add_f16_sdwa v26, v0, v7 dst_sel:DWORD dst_unused:UNUSED_PAD src0_sel:WORD_1 src1_sel:DWORD
	v_mul_f16_sdwa v7, v1, s12 dst_sel:DWORD dst_unused:UNUSED_PAD src0_sel:WORD_1 src1_sel:DWORD
	v_fma_f16 v29, v5, s16, -v7
	v_mul_f16_e32 v30, 0xbb7b, v1
	v_fma_f16 v7, v5, s16, v7
	v_add_f16_e32 v32, v0, v7
	;; [unrolled: 8-line block ×3, first 2 shown]
	v_fma_f16 v7, v8, s18, -v34
	v_fma_f16 v37, v8, s18, v34
	v_add_f16_sdwa v34, v0, v7 dst_sel:DWORD dst_unused:UNUSED_PAD src0_sel:WORD_1 src1_sel:DWORD
	v_pk_add_f16 v7, v10, v15 neg_lo:[0,1] neg_hi:[0,1]
	v_pk_add_f16 v8, v15, v10
	v_mul_f16_sdwa v10, v7, s23 dst_sel:DWORD dst_unused:UNUSED_PAD src0_sel:WORD_1 src1_sel:DWORD
	v_fma_f16 v15, v8, s5, -v10
	v_add_f16_e32 v15, v15, v9
	v_fma_f16 v9, v8, s5, v10
	v_add_f16_e32 v12, v9, v12
	v_pk_mul_f16 v9, v8, s19
	s_mov_b32 s19, 0xbb7bba95
	v_pk_fma_f16 v39, v7, s19, v9 op_sel:[0,0,1] op_sel_hi:[1,1,0] neg_lo:[1,0,0] neg_hi:[1,0,0]
	v_pk_fma_f16 v9, v7, s19, v9 op_sel:[0,0,1] op_sel_hi:[1,1,0]
	v_bfi_b32 v10, s2, v9, v39
	v_pk_add_f16 v20, v10, v20
	v_lshrrev_b32_e32 v10, 16, v8
	v_mul_f16_e32 v40, 0xbb7b, v7
	v_pk_add_f16 v23, v9, v23
	v_fma_f16 v9, v10, s16, -v40
	v_add_f16_e32 v21, v9, v21
	v_mul_f16_sdwa v9, v7, s20 dst_sel:DWORD dst_unused:UNUSED_PAD src0_sel:WORD_1 src1_sel:DWORD
	v_add_f16_e32 v25, v0, v25
	v_fma_f16 v41, v10, s16, v40
	v_fma_f16 v40, v8, s21, -v9
	v_add_f16_e32 v25, v40, v25
	v_mul_f16_e32 v40, 0xb3a8, v7
	v_fma_f16 v9, v8, s21, v9
	v_add_f16_e32 v28, v9, v28
	v_fma_f16 v9, v10, s21, -v40
	s_movk_i32 s19, 0x394e
	v_add_f16_sdwa v22, v0, v22 dst_sel:DWORD dst_unused:UNUSED_PAD src0_sel:WORD_1 src1_sel:DWORD
	v_add_f16_e32 v26, v9, v26
	v_mul_f16_sdwa v9, v7, s19 dst_sel:DWORD dst_unused:UNUSED_PAD src0_sel:WORD_1 src1_sel:DWORD
	v_add_f16_e32 v29, v0, v29
	v_add_f16_e32 v22, v41, v22
	v_fma_f16 v41, v10, s21, v40
	v_fma_f16 v40, v8, s18, -v9
	v_add_f16_e32 v29, v40, v29
	v_mul_f16_e32 v40, 0x394e, v7
	v_fma_f16 v9, v8, s18, v9
	v_add_f16_e32 v32, v9, v32
	v_fma_f16 v9, v10, s18, -v40
	s_movk_i32 s19, 0x3bf1
	v_add_f16_sdwa v27, v0, v27 dst_sel:DWORD dst_unused:UNUSED_PAD src0_sel:WORD_1 src1_sel:DWORD
	v_add_f16_e32 v30, v9, v30
	v_mul_f16_sdwa v9, v7, s19 dst_sel:DWORD dst_unused:UNUSED_PAD src0_sel:WORD_1 src1_sel:DWORD
	v_add_f16_e32 v33, v0, v33
	v_add_f16_e32 v27, v41, v27
	v_fma_f16 v41, v10, s18, v40
	v_fma_f16 v40, v8, s4, -v9
	v_add_f16_e32 v33, v40, v33
	v_mul_f16_e32 v40, 0x3bf1, v7
	v_fma_f16 v9, v8, s4, v9
	v_add_f16_e32 v38, v9, v38
	v_fma_f16 v9, v10, s4, -v40
	v_add_f16_sdwa v31, v0, v31 dst_sel:DWORD dst_unused:UNUSED_PAD src0_sel:WORD_1 src1_sel:DWORD
	v_add_f16_e32 v34, v9, v34
	v_pk_add_f16 v9, v11, v14 neg_lo:[0,1] neg_hi:[0,1]
	v_add_f16_e32 v31, v41, v31
	v_fma_f16 v41, v10, s4, v40
	v_pk_add_f16 v10, v14, v11
	v_mul_f16_sdwa v11, v9, s24 dst_sel:DWORD dst_unused:UNUSED_PAD src0_sel:WORD_1 src1_sel:DWORD
	v_fma_f16 v14, v10, s4, -v11
	v_fma_f16 v11, v10, s4, v11
	v_add_f16_sdwa v37, v0, v37 dst_sel:DWORD dst_unused:UNUSED_PAD src0_sel:WORD_1 src1_sel:DWORD
	v_add_f16_e32 v11, v11, v12
	v_pk_mul_f16 v12, v10, s22
	s_mov_b32 s22, 0xb3a8bbf1
	v_add_f16_e32 v37, v41, v37
	v_pk_fma_f16 v41, v9, s22, v12 op_sel:[0,0,1] op_sel_hi:[1,1,0] neg_lo:[1,0,0] neg_hi:[1,0,0]
	v_pk_fma_f16 v12, v9, s22, v12 op_sel:[0,0,1] op_sel_hi:[1,1,0]
	v_add_f16_e32 v40, v14, v15
	v_bfi_b32 v14, s2, v12, v41
	v_pk_add_f16 v20, v14, v20
	v_lshrrev_b32_e32 v14, 16, v10
	v_mul_f16_e32 v15, 0xb3a8, v9
	v_fma_f16 v42, v14, s21, v15
	v_fma_f16 v15, v14, s21, -v15
	s_movk_i32 s22, 0x3b7b
	v_add_f16_e32 v21, v15, v21
	v_mul_f16_sdwa v15, v9, s22 dst_sel:DWORD dst_unused:UNUSED_PAD src0_sel:WORD_1 src1_sel:DWORD
	v_pk_add_f16 v12, v12, v23
	v_fma_f16 v23, v10, s16, -v15
	v_add_f16_e32 v23, v23, v25
	v_mul_f16_e32 v25, 0x3b7b, v9
	v_fma_f16 v15, v10, s16, v15
	v_add_f16_e32 v28, v15, v28
	v_fma_f16 v15, v14, s16, -v25
	s_movk_i32 s22, 0x3770
	v_add_f16_e32 v22, v42, v22
	v_fma_f16 v42, v14, s16, v25
	v_add_f16_e32 v25, v15, v26
	v_mul_f16_sdwa v15, v9, s22 dst_sel:DWORD dst_unused:UNUSED_PAD src0_sel:WORD_1 src1_sel:DWORD
	v_fma_f16 v26, v10, s3, -v15
	v_add_f16_e32 v26, v26, v29
	v_mul_f16_e32 v29, 0x3770, v9
	v_fma_f16 v15, v10, s3, v15
	v_add_f16_e32 v32, v15, v32
	v_fma_f16 v15, v14, s3, -v29
	v_add_f16_e32 v27, v42, v27
	v_fma_f16 v42, v14, s3, v29
	v_add_f16_e32 v29, v15, v30
	v_mul_f16_sdwa v15, v9, s23 dst_sel:DWORD dst_unused:UNUSED_PAD src0_sel:WORD_1 src1_sel:DWORD
	v_fma_f16 v30, v10, s5, -v15
	v_add_f16_e32 v30, v30, v33
	v_mul_f16_e32 v33, 0xba95, v9
	v_add_f16_e32 v31, v42, v31
	v_fma_f16 v42, v14, s5, v33
	v_fma_f16 v14, v14, s5, -v33
	v_fma_f16 v15, v10, s5, v15
	v_add_f16_e32 v33, v14, v34
	v_pk_add_f16 v14, v16, v19 neg_lo:[0,1] neg_hi:[0,1]
	v_add_f16_e32 v38, v15, v38
	v_pk_add_f16 v15, v19, v16
	v_mul_f16_sdwa v16, v14, s12 dst_sel:DWORD dst_unused:UNUSED_PAD src0_sel:WORD_1 src1_sel:DWORD
	v_fma_f16 v19, v15, s16, -v16
	v_fma_f16 v16, v15, s16, v16
	v_add_f16_e32 v16, v16, v11
	v_pk_mul_f16 v11, v15, s25
	s_mov_b32 s25, 0x394ebb7b
	v_pk_fma_f16 v34, v14, s25, v11 op_sel:[0,0,1] op_sel_hi:[1,1,0] neg_lo:[1,0,0] neg_hi:[1,0,0]
	v_pk_fma_f16 v11, v14, s25, v11 op_sel:[0,0,1] op_sel_hi:[1,1,0]
	v_add_f16_e32 v19, v19, v40
	v_bfi_b32 v40, s2, v11, v34
	v_add_f16_e32 v37, v42, v37
	v_pk_add_f16 v20, v40, v20
	v_lshrrev_b32_e32 v40, 16, v15
	v_mul_f16_e32 v42, 0x394e, v14
	v_pk_add_f16 v11, v11, v12
	v_fma_f16 v12, v40, s18, -v42
	v_add_f16_e32 v21, v12, v21
	v_mul_f16_sdwa v12, v14, s22 dst_sel:DWORD dst_unused:UNUSED_PAD src0_sel:WORD_1 src1_sel:DWORD
	v_fma_f16 v43, v40, s18, v42
	v_fma_f16 v42, v15, s3, -v12
	v_add_f16_e32 v23, v42, v23
	v_mul_f16_e32 v42, 0x3770, v14
	v_fma_f16 v12, v15, s3, v12
	v_add_f16_e32 v28, v12, v28
	v_fma_f16 v12, v40, s3, -v42
	v_add_f16_e32 v12, v12, v25
	v_mul_f16_sdwa v25, v14, s24 dst_sel:DWORD dst_unused:UNUSED_PAD src0_sel:WORD_1 src1_sel:DWORD
	v_add_f16_e32 v22, v43, v22
	v_fma_f16 v43, v40, s3, v42
	v_fma_f16 v42, v15, s4, -v25
	v_add_f16_e32 v26, v42, v26
	v_mul_f16_e32 v42, 0xbbf1, v14
	v_fma_f16 v25, v15, s4, v25
	v_add_f16_e32 v25, v25, v32
	v_fma_f16 v32, v40, s4, -v42
	s_movk_i32 s24, 0x33a8
	v_add_f16_e32 v29, v32, v29
	v_mul_f16_sdwa v32, v14, s24 dst_sel:DWORD dst_unused:UNUSED_PAD src0_sel:WORD_1 src1_sel:DWORD
	v_add_f16_e32 v27, v43, v27
	v_fma_f16 v43, v40, s4, v42
	v_fma_f16 v42, v15, s21, -v32
	v_add_f16_e32 v30, v42, v30
	v_mul_f16_e32 v42, 0x33a8, v14
	v_fma_f16 v32, v15, s21, v32
	v_add_f16_e32 v32, v32, v38
	v_fma_f16 v38, v40, s21, -v42
	v_add_f16_e32 v33, v38, v33
	v_pk_add_f16 v38, v18, v17
	v_pk_add_f16 v17, v17, v18 neg_lo:[0,1] neg_hi:[0,1]
	v_mul_f16_sdwa v18, v17, s17 dst_sel:DWORD dst_unused:UNUSED_PAD src0_sel:WORD_1 src1_sel:DWORD
	v_add_f16_e32 v31, v43, v31
	v_fma_f16 v43, v40, s21, v42
	v_fma_f16 v40, v38, s18, -v18
	v_fma_f16 v18, v38, s18, v18
	s_mov_b32 s25, 0xb9fd2fb7
	v_add_f16_e32 v16, v18, v16
	v_pk_mul_f16 v18, v38, s25
	s_mov_b32 s25, 0x3bf1b94e
	v_add_f16_e32 v19, v40, v19
	v_pk_fma_f16 v40, v17, s25, v18 op_sel:[0,0,1] op_sel_hi:[1,1,0] neg_lo:[1,0,0] neg_hi:[1,0,0]
	v_pk_fma_f16 v18, v17, s25, v18 op_sel:[0,0,1] op_sel_hi:[1,1,0]
	v_bfi_b32 v42, s2, v18, v40
	v_add_f16_e32 v37, v43, v37
	v_pk_add_f16 v20, v42, v20
	v_lshrrev_b32_e32 v42, 16, v38
	v_mul_f16_e32 v43, 0x3bf1, v17
	v_fma_f16 v44, v42, s4, v43
	v_fma_f16 v43, v42, s4, -v43
	v_add_f16_e32 v21, v43, v21
	v_mul_f16_sdwa v43, v17, s23 dst_sel:DWORD dst_unused:UNUSED_PAD src0_sel:WORD_1 src1_sel:DWORD
	v_add_f16_e32 v22, v44, v22
	v_fma_f16 v44, v38, s5, -v43
	v_add_f16_e32 v23, v44, v23
	v_mul_f16_e32 v44, 0xba95, v17
	v_fma_f16 v43, v38, s5, v43
	v_fma_f16 v45, v42, s5, v44
	v_add_f16_e32 v28, v43, v28
	v_fma_f16 v43, v42, s5, -v44
	v_mul_f16_sdwa v44, v17, s24 dst_sel:DWORD dst_unused:UNUSED_PAD src0_sel:WORD_1 src1_sel:DWORD
	v_add_f16_e32 v27, v45, v27
	v_fma_f16 v45, v38, s21, -v44
	v_add_f16_e32 v45, v45, v26
	v_mul_f16_e32 v26, 0x33a8, v17
	v_fma_f16 v44, v38, s21, v44
	v_add_f16_e32 v44, v44, v25
	v_fma_f16 v25, v42, s21, -v26
	v_add_f16_e32 v29, v25, v29
	v_mul_f16_sdwa v25, v17, s22 dst_sel:DWORD dst_unused:UNUSED_PAD src0_sel:WORD_1 src1_sel:DWORD
	v_fma_f16 v46, v42, s21, v26
	v_fma_f16 v26, v38, s3, -v25
	v_add_f16_e32 v30, v26, v30
	v_mul_f16_e32 v26, 0x3770, v17
	v_fma_f16 v25, v38, s3, v25
	v_add_f16_e32 v31, v46, v31
	v_fma_f16 v46, v42, s3, v26
	v_add_f16_e32 v32, v25, v32
	v_fma_f16 v25, v42, s3, -v26
	v_pk_add_f16 v42, v3, v2
	v_pk_add_f16 v2, v2, v3 neg_lo:[0,1] neg_hi:[0,1]
	v_add_f16_sdwa v13, v0, v13 dst_sel:DWORD dst_unused:UNUSED_PAD src0_sel:WORD_1 src1_sel:DWORD
	v_mul_f16_sdwa v3, v2, s20 dst_sel:DWORD dst_unused:UNUSED_PAD src0_sel:WORD_1 src1_sel:DWORD
	v_add_f16_e32 v13, v39, v13
	v_add_f16_e32 v33, v25, v33
	v_fma_f16 v25, v42, s21, -v3
	v_fma_f16 v3, v42, s21, v3
	s_mov_b32 s23, 0xbbc43b15
	v_add_f16_e32 v13, v41, v13
	v_add_f16_e32 v19, v25, v19
	;; [unrolled: 1-line block ×3, first 2 shown]
	v_pk_mul_f16 v3, v42, s23
	s_mov_b32 s23, 0x3770b3a8
	v_add_f16_e32 v13, v34, v13
	v_add_f16_e32 v37, v46, v37
	v_pk_fma_f16 v46, v2, s23, v3 op_sel:[0,0,1] op_sel_hi:[1,1,0] neg_lo:[1,0,0] neg_hi:[1,0,0]
	v_add_f16_e32 v13, v40, v13
	v_add_f16_e32 v26, v46, v13
	v_pk_fma_f16 v13, v2, s23, v3 op_sel:[0,0,1] op_sel_hi:[1,1,0]
	v_bfi_b32 v13, s2, v13, v46
	v_pk_add_f16 v13, v13, v20
	v_lshrrev_b32_e32 v20, 16, v42
	v_mul_f16_e32 v34, 0x3770, v2
	v_fma_f16 v39, v20, s3, v34
	v_fma_f16 v34, v20, s3, -v34
	v_add_f16_e32 v21, v34, v21
	v_mul_f16_sdwa v34, v2, s17 dst_sel:DWORD dst_unused:UNUSED_PAD src0_sel:WORD_1 src1_sel:DWORD
	v_add_f16_e32 v22, v39, v22
	v_fma_f16 v39, v42, s18, -v34
	v_pk_mul_f16 v16, v2, s23
	v_add_f16_e32 v23, v39, v23
	v_mul_f16_e32 v39, 0xb9fd, v20
	v_fma_f16 v34, v42, s18, v34
	s_movk_i32 s23, 0x3a95
	v_fma_f16 v41, v2, s17, v39
	v_add_f16_e32 v28, v34, v28
	v_mul_f16_sdwa v34, v2, s23 dst_sel:DWORD dst_unused:UNUSED_PAD src0_sel:WORD_1 src1_sel:DWORD
	v_add_f16_e32 v27, v41, v27
	v_fma_f16 v41, v42, s5, -v34
	v_add_f16_e32 v41, v41, v45
	v_mul_f16_e32 v45, 0x3a95, v2
	v_fma_f16 v34, v42, s5, v34
	v_add_f16_e32 v34, v34, v44
	v_fma_f16 v44, v20, s5, -v45
	v_add_f16_e32 v29, v44, v29
	v_mul_f16_sdwa v44, v2, s12 dst_sel:DWORD dst_unused:UNUSED_PAD src0_sel:WORD_1 src1_sel:DWORD
	v_fma_f16 v46, v20, s5, v45
	v_fma_f16 v45, v42, s16, -v44
	v_add_f16_e32 v30, v45, v30
	v_mul_f16_e32 v45, 0xbb7b, v2
	v_add_f16_e32 v31, v46, v31
	v_fma_f16 v46, v20, s16, v45
	v_alignbit_b32 v22, v22, v13, 16
	v_pack_b32_f16 v13, v19, v13
	v_add_f16_e32 v37, v46, v37
	s_barrier
	ds_write2_b32 v35, v13, v22 offset0:1 offset1:2
	v_pack_b32_f16 v13, v41, v31
	v_pack_b32_f16 v19, v23, v27
	ds_write2_b32 v35, v19, v13 offset0:3 offset1:4
	v_pack_b32_f16 v13, v30, v37
	v_pk_mul_f16 v5, v5, s21 op_sel_hi:[1,0]
	ds_write2_b32 v35, v6, v13 offset1:5
	v_pk_fma_f16 v6, v1, s20, v5 op_sel:[0,0,1] op_sel_hi:[1,0,0] neg_lo:[1,0,0] neg_hi:[1,0,0]
	v_pk_fma_f16 v1, v1, s20, v5 op_sel:[0,0,1] op_sel_hi:[1,0,0]
	v_pk_add_f16 v6, v0, v6 op_sel:[1,0] op_sel_hi:[0,1]
	v_pk_add_f16 v0, v0, v1 op_sel:[1,0] op_sel_hi:[0,1]
	v_pk_mul_f16 v1, v8, s3 op_sel_hi:[1,0]
	v_pk_fma_f16 v5, v7, s22, v1 op_sel:[0,0,1] op_sel_hi:[1,0,0] neg_lo:[1,0,0] neg_hi:[1,0,0]
	v_pk_fma_f16 v1, v7, s22, v1 op_sel:[0,0,1] op_sel_hi:[1,0,0]
	v_pk_add_f16 v0, v1, v0
	v_pk_mul_f16 v1, v10, s18 op_sel_hi:[1,0]
	v_pk_add_f16 v5, v5, v6
	v_pk_fma_f16 v6, v9, s17, v1 op_sel:[0,0,1] op_sel_hi:[1,0,0] neg_lo:[1,0,0] neg_hi:[1,0,0]
	v_pk_fma_f16 v1, v9, s17, v1 op_sel:[0,0,1] op_sel_hi:[1,0,0]
	v_pk_add_f16 v0, v1, v0
	v_pk_mul_f16 v1, v15, s5 op_sel_hi:[1,0]
	v_pk_add_f16 v5, v6, v5
	;; [unrolled: 5-line block ×4, first 2 shown]
	v_pk_fma_f16 v6, v2, s19, v1 op_sel:[0,0,1] op_sel_hi:[1,0,0] neg_lo:[1,0,0] neg_hi:[1,0,0]
	v_pk_fma_f16 v1, v2, s19, v1 op_sel:[0,0,1] op_sel_hi:[1,0,0]
	v_fma_f16 v44, v42, s16, v44
	v_fma_f16 v20, v20, s16, -v45
	v_pk_add_f16 v5, v6, v5
	v_pk_add_f16 v0, v1, v0
	v_add_f16_e32 v32, v44, v32
	v_add_f16_e32 v20, v20, v33
	v_alignbit_b32 v1, v5, v0, 16
	v_alignbit_b32 v0, v0, v5, 16
	ds_write2_b32 v35, v0, v1 offset0:6 offset1:7
	v_pack_b32_f16 v0, v34, v29
	v_pack_b32_f16 v1, v32, v20
	v_mul_f16_e32 v40, 0xb94e, v2
	ds_write2_b32 v35, v1, v0 offset0:8 offset1:9
	v_pack_b32_f16 v0, v43, v3
	v_bfi_b32 v1, s2, v12, v16
	v_pk_add_f16 v0, v0, v1
	v_bfi_b32 v1, s2, v40, v11
	v_pk_add_f16 v1, v39, v1 neg_lo:[0,1] neg_hi:[0,1]
	v_pk_add_f16 v2, v18, v11
	v_bfi_b32 v1, s2, v1, v2
	v_pk_add_f16 v0, v1, v0
	v_alignbit_b32 v1, v21, v0, 16
	v_pack_b32_f16 v0, v28, v0
	ds_write2_b32 v35, v0, v1 offset0:10 offset1:11
	v_pack_b32_f16 v0, v25, v26
	v_add_u32_e32 v6, 0x1400, v47
	ds_write_b32 v35, v0 offset:48
	s_waitcnt lgkmcnt(0)
	s_barrier
	ds_read2_b32 v[2:3], v47 offset1:156
	ds_read2_b32 v[0:1], v4 offset0:56 offset1:251
	ds_read2_b32 v[8:9], v6 offset0:46 offset1:241
	v_add_u32_e32 v6, 0xa00, v47
	v_add_u32_e32 v4, 0xf00, v47
	ds_read2_b32 v[10:11], v6 offset0:23 offset1:179
	v_add_u32_e32 v6, 0x1a00, v47
	ds_read2_b32 v[4:5], v4 offset0:54 offset1:210
	ds_read2_b32 v[6:7], v6 offset0:13 offset1:169
	v_cmp_gt_u16_e64 s[2:3], 39, v58
                                        ; implicit-def: $vgpr29
                                        ; implicit-def: $vgpr33
                                        ; implicit-def: $vgpr30
                                        ; implicit-def: $vgpr34
                                        ; implicit-def: $vgpr32
                                        ; implicit-def: $vgpr37
	s_and_saveexec_b64 s[4:5], s[2:3]
	s_cbranch_execz .LBB0_3
; %bb.2:
	ds_read_b32 v25, v47 offset:1872
	ds_read_b32 v32, v47 offset:3900
	;; [unrolled: 1-line block ×4, first 2 shown]
	s_waitcnt lgkmcnt(3)
	v_lshrrev_b32_e32 v26, 16, v25
	s_waitcnt lgkmcnt(2)
	v_lshrrev_b32_e32 v37, 16, v32
	;; [unrolled: 2-line block ×4, first 2 shown]
.LBB0_3:
	s_or_b64 exec, exec, s[4:5]
	s_movk_i32 s4, 0x138
	v_add_co_u32_e32 v27, vcc, s4, v58
	s_movk_i32 s4, 0x4f
	v_mul_lo_u16_sdwa v12, v58, s4 dst_sel:DWORD dst_unused:UNUSED_PAD src0_sel:BYTE_0 src1_sel:DWORD
	v_lshrrev_b16_e32 v43, 10, v12
	v_mul_lo_u16_e32 v12, 13, v43
	v_sub_u16_e32 v12, v58, v12
	v_and_b32_e32 v44, 0xff, v12
	v_mad_u64_u32 v[15:16], s[4:5], v44, 12, s[14:15]
	s_movk_i32 s4, 0x4ec5
	v_mul_u32_u24_sdwa v12, v27, s4 dst_sel:DWORD dst_unused:UNUSED_PAD src0_sel:WORD_0 src1_sel:DWORD
	v_lshrrev_b32_e32 v45, 18, v12
	v_mul_lo_u16_e32 v12, 13, v45
	v_sub_u16_e32 v46, v27, v12
	v_mul_lo_u16_e32 v12, 12, v46
	v_mov_b32_e32 v17, s15
	v_add_co_u32_e32 v12, vcc, s14, v12
	v_addc_co_u32_e32 v13, vcc, 0, v17, vcc
	v_add_co_u32_e32 v28, vcc, 0x9c, v58
	global_load_dwordx3 v[12:14], v[12:13], off
	v_add_u16_e32 v31, 0x1d4, v58
	global_load_dwordx3 v[21:23], v[15:16], off
	v_mul_u32_u24_sdwa v15, v28, s4 dst_sel:DWORD dst_unused:UNUSED_PAD src0_sel:WORD_0 src1_sel:DWORD
	v_lshrrev_b32_e32 v65, 18, v15
	v_mul_lo_u16_e32 v15, 13, v65
	v_sub_u16_e32 v66, v28, v15
	v_mul_lo_u16_e32 v15, 12, v66
	v_add_co_u32_e32 v15, vcc, s14, v15
	v_addc_co_u32_e32 v16, vcc, 0, v17, vcc
	global_load_dwordx3 v[18:20], v[15:16], off
	v_mul_u32_u24_e32 v15, 0x4ec5, v31
	v_lshrrev_b32_e32 v62, 18, v15
	v_mul_lo_u16_e32 v15, 13, v62
	v_sub_u16_e32 v63, v31, v15
	v_mul_lo_u16_e32 v15, 12, v63
	v_add_co_u32_e32 v15, vcc, s14, v15
	v_addc_co_u32_e32 v16, vcc, 0, v17, vcc
	global_load_dwordx3 v[15:17], v[15:16], off
	s_waitcnt lgkmcnt(2)
	v_lshrrev_b32_e32 v70, 16, v11
	s_waitcnt lgkmcnt(1)
	v_lshrrev_b32_e32 v40, 16, v4
	;; [unrolled: 2-line block ×3, first 2 shown]
	v_lshrrev_b32_e32 v71, 16, v8
	v_lshrrev_b32_e32 v39, 16, v1
	;; [unrolled: 1-line block ×9, first 2 shown]
	s_waitcnt vmcnt(0)
	s_barrier
	v_mul_f16_sdwa v73, v70, v12 dst_sel:DWORD dst_unused:UNUSED_PAD src0_sel:DWORD src1_sel:WORD_1
	v_mul_f16_sdwa v74, v11, v12 dst_sel:DWORD dst_unused:UNUSED_PAD src0_sel:DWORD src1_sel:WORD_1
	;; [unrolled: 1-line block ×3, first 2 shown]
	v_fma_f16 v11, v11, v12, -v73
	v_mul_f16_sdwa v73, v40, v22 dst_sel:DWORD dst_unused:UNUSED_PAD src0_sel:DWORD src1_sel:WORD_1
	v_fma_f16 v70, v70, v12, v74
	v_mul_f16_sdwa v74, v4, v22 dst_sel:DWORD dst_unused:UNUSED_PAD src0_sel:DWORD src1_sel:WORD_1
	v_fma_f16 v4, v4, v22, -v73
	v_fma_f16 v73, v7, v14, -v77
	v_mul_f16_sdwa v7, v7, v14 dst_sel:DWORD dst_unused:UNUSED_PAD src0_sel:DWORD src1_sel:WORD_1
	v_fma_f16 v7, v72, v14, v7
	v_mul_f16_sdwa v76, v8, v13 dst_sel:DWORD dst_unused:UNUSED_PAD src0_sel:DWORD src1_sel:WORD_1
	v_mul_f16_sdwa v75, v71, v13 dst_sel:DWORD dst_unused:UNUSED_PAD src0_sel:DWORD src1_sel:WORD_1
	v_fma_f16 v71, v71, v13, v76
	v_mul_f16_sdwa v76, v9, v23 dst_sel:DWORD dst_unused:UNUSED_PAD src0_sel:DWORD src1_sel:WORD_1
	v_mul_f16_sdwa v82, v1, v21 dst_sel:DWORD dst_unused:UNUSED_PAD src0_sel:DWORD src1_sel:WORD_1
	v_fma_f16 v8, v8, v13, -v75
	v_mul_f16_sdwa v75, v41, v23 dst_sel:DWORD dst_unused:UNUSED_PAD src0_sel:DWORD src1_sel:WORD_1
	v_mul_f16_sdwa v83, v39, v21 dst_sel:DWORD dst_unused:UNUSED_PAD src0_sel:DWORD src1_sel:WORD_1
	v_fma_f16 v40, v40, v22, v74
	v_fma_f16 v41, v41, v23, v76
	;; [unrolled: 1-line block ×3, first 2 shown]
	v_mul_f16_sdwa v72, v37, v15 dst_sel:DWORD dst_unused:UNUSED_PAD src0_sel:DWORD src1_sel:WORD_1
	v_fma_f16 v72, v32, v15, -v72
	v_mul_f16_sdwa v32, v32, v15 dst_sel:DWORD dst_unused:UNUSED_PAD src0_sel:DWORD src1_sel:WORD_1
	v_fma_f16 v32, v37, v15, v32
	v_mul_f16_sdwa v37, v34, v16 dst_sel:DWORD dst_unused:UNUSED_PAD src0_sel:DWORD src1_sel:WORD_1
	v_fma_f16 v37, v30, v16, -v37
	v_mul_f16_sdwa v30, v30, v16 dst_sel:DWORD dst_unused:UNUSED_PAD src0_sel:DWORD src1_sel:WORD_1
	v_fma_f16 v30, v34, v16, v30
	;; [unrolled: 4-line block ×3, first 2 shown]
	v_sub_f16_e32 v33, v38, v40
	v_sub_f16_e32 v40, v39, v41
	v_mul_f16_sdwa v78, v64, v18 dst_sel:DWORD dst_unused:UNUSED_PAD src0_sel:DWORD src1_sel:WORD_1
	v_mul_f16_sdwa v79, v10, v18 dst_sel:DWORD dst_unused:UNUSED_PAD src0_sel:DWORD src1_sel:WORD_1
	;; [unrolled: 1-line block ×5, first 2 shown]
	v_fma_f16 v38, v38, 2.0, -v33
	v_fma_f16 v39, v39, 2.0, -v40
	v_mul_f16_sdwa v80, v67, v19 dst_sel:DWORD dst_unused:UNUSED_PAD src0_sel:DWORD src1_sel:WORD_1
	v_fma_f16 v10, v10, v18, -v78
	v_fma_f16 v64, v64, v18, v79
	v_fma_f16 v67, v67, v19, v81
	v_fma_f16 v6, v6, v20, -v84
	v_fma_f16 v68, v68, v20, v85
	v_sub_f16_e32 v4, v2, v4
	v_sub_f16_e32 v74, v38, v39
	v_fma_f16 v9, v9, v23, -v75
	v_fma_f16 v75, v38, 2.0, -v74
	v_sub_f16_e32 v76, v4, v40
	v_sub_f16_e32 v38, v42, v67
	;; [unrolled: 1-line block ×4, first 2 shown]
	v_fma_f16 v39, v42, 2.0, -v38
	v_fma_f16 v10, v10, 2.0, -v6
	v_fma_f16 v41, v64, 2.0, -v40
	v_add_f16_e32 v6, v38, v6
	v_fma_f16 v5, v5, v19, -v80
	v_sub_f16_e32 v77, v39, v41
	v_fma_f16 v80, v38, 2.0, -v6
	v_sub_f16_e32 v38, v69, v71
	v_sub_f16_e32 v7, v70, v7
	v_fma_f16 v1, v1, v21, -v83
	v_fma_f16 v78, v39, 2.0, -v77
	v_fma_f16 v39, v69, 2.0, -v38
	;; [unrolled: 1-line block ×3, first 2 shown]
	v_sub_f16_e32 v9, v1, v9
	v_sub_f16_e32 v69, v39, v41
	;; [unrolled: 1-line block ×4, first 2 shown]
	v_fma_f16 v2, v2, 2.0, -v4
	v_fma_f16 v1, v1, 2.0, -v9
	;; [unrolled: 1-line block ×4, first 2 shown]
	v_sub_f16_e32 v1, v2, v1
	v_add_f16_e32 v9, v33, v9
	v_fma_f16 v70, v39, 2.0, -v69
	v_sub_f16_e32 v39, v25, v37
	v_fma_f16 v2, v2, 2.0, -v1
	v_fma_f16 v4, v4, 2.0, -v76
	;; [unrolled: 1-line block ×3, first 2 shown]
	v_sub_f16_e32 v5, v3, v5
	v_fma_f16 v37, v25, 2.0, -v39
	v_mul_u32_u24_e32 v25, 52, v43
	v_fma_f16 v3, v3, 2.0, -v5
	v_add_lshl_u32 v64, v25, v44, 2
	v_pack_b32_f16 v2, v2, v75
	v_pack_b32_f16 v4, v4, v33
	v_sub_f16_e32 v10, v3, v10
	v_sub_f16_e32 v79, v5, v40
	ds_write2_b32 v64, v2, v4 offset1:13
	v_pack_b32_f16 v1, v1, v74
	v_pack_b32_f16 v2, v76, v9
	v_fma_f16 v3, v3, 2.0, -v10
	v_fma_f16 v5, v5, 2.0, -v79
	v_sub_f16_e32 v8, v0, v8
	v_sub_f16_e32 v40, v11, v73
	ds_write2_b32 v64, v1, v2 offset0:26 offset1:39
	v_mad_legacy_u16 v1, v65, 52, v66
	v_fma_f16 v0, v0, 2.0, -v8
	v_fma_f16 v11, v11, 2.0, -v40
	v_lshlrev_b32_e32 v65, 2, v1
	v_pack_b32_f16 v1, v3, v78
	v_pack_b32_f16 v2, v5, v80
	v_sub_f16_e32 v11, v0, v11
	v_sub_f16_e32 v7, v8, v7
	v_add_f16_e32 v71, v38, v40
	v_sub_f16_e32 v30, v26, v30
	v_sub_f16_e32 v29, v32, v29
	ds_write2_b32 v65, v1, v2 offset1:13
	v_pack_b32_f16 v1, v10, v77
	v_pack_b32_f16 v2, v79, v6
	v_fma_f16 v0, v0, 2.0, -v11
	v_fma_f16 v8, v8, 2.0, -v7
	;; [unrolled: 1-line block ×5, first 2 shown]
	ds_write2_b32 v65, v1, v2 offset0:26 offset1:39
	v_mad_legacy_u16 v1, v45, 52, v46
	v_sub_f16_e32 v40, v26, v32
	v_sub_f16_e32 v67, v41, v29
	v_add_f16_e32 v68, v30, v34
	v_lshlrev_b32_e32 v66, 2, v1
	v_pack_b32_f16 v0, v0, v70
	v_pack_b32_f16 v1, v8, v73
	v_fma_f16 v38, v26, 2.0, -v40
	v_fma_f16 v41, v41, 2.0, -v67
	;; [unrolled: 1-line block ×3, first 2 shown]
	ds_write2_b32 v66, v0, v1 offset1:13
	v_pack_b32_f16 v0, v11, v69
	v_pack_b32_f16 v1, v7, v71
	ds_write2_b32 v66, v0, v1 offset0:26 offset1:39
	s_and_saveexec_b64 s[4:5], s[2:3]
	s_cbranch_execz .LBB0_5
; %bb.4:
	v_mad_legacy_u16 v0, v62, 52, v63
	s_mov_b32 s12, 0x5040100
	v_lshlrev_b32_e32 v0, 2, v0
	v_perm_b32 v1, v38, v37, s12
	v_perm_b32 v2, v42, v41, s12
	ds_write2_b32 v0, v1, v2 offset1:13
	v_perm_b32 v1, v40, v39, s12
	v_perm_b32 v2, v68, v67, s12
	ds_write2_b32 v0, v1, v2 offset0:26 offset1:39
.LBB0_5:
	s_or_b64 exec, exec, s[4:5]
	v_add_u32_e32 v0, 0xa00, v47
	s_waitcnt lgkmcnt(0)
	s_barrier
	ds_read2_b32 v[4:5], v0 offset0:36 offset1:192
	v_add_u32_e32 v0, 0x1400, v47
	ds_read2_b32 v[8:9], v0 offset0:72 offset1:228
	v_add_u32_e32 v0, 0x400, v47
	v_add_u32_e32 v6, 0xe00, v47
	;; [unrolled: 1-line block ×3, first 2 shown]
	ds_read2_b32 v[2:3], v47 offset1:156
	ds_read2_b32 v[0:1], v0 offset0:56 offset1:212
	ds_read2_b32 v[6:7], v6 offset0:92 offset1:248
	ds_read2_b32 v[10:11], v10 offset1:156
	v_cmp_gt_u16_e32 vcc, 52, v58
	s_and_saveexec_b64 s[4:5], vcc
	s_cbranch_execz .LBB0_7
; %bb.6:
	ds_read_b32 v37, v47 offset:2496
	ds_read_b32 v41, v47 offset:5200
	;; [unrolled: 1-line block ×3, first 2 shown]
	s_waitcnt lgkmcnt(2)
	v_lshrrev_b32_e32 v38, 16, v37
	s_waitcnt lgkmcnt(1)
	v_lshrrev_b32_e32 v42, 16, v41
	;; [unrolled: 2-line block ×3, first 2 shown]
.LBB0_7:
	s_or_b64 exec, exec, s[4:5]
	s_movk_i32 s4, 0x4f
	v_mul_lo_u16_sdwa v25, v58, s4 dst_sel:DWORD dst_unused:UNUSED_PAD src0_sel:BYTE_0 src1_sel:DWORD
	v_lshrrev_b16_e32 v43, 12, v25
	v_mul_lo_u16_e32 v25, 52, v43
	v_sub_u16_e32 v25, v58, v25
	s_movk_i32 s12, 0x4ec5
	v_and_b32_e32 v44, 0xff, v25
	v_mul_u32_u24_sdwa v25, v28, s12 dst_sel:DWORD dst_unused:UNUSED_PAD src0_sel:WORD_0 src1_sel:DWORD
	v_lshrrev_b32_e32 v45, 20, v25
	v_mul_lo_u16_e32 v25, 52, v45
	v_sub_u16_e32 v46, v28, v25
	v_mul_u32_u24_sdwa v28, v27, s12 dst_sel:DWORD dst_unused:UNUSED_PAD src0_sel:WORD_0 src1_sel:DWORD
	v_lshlrev_b16_e32 v25, 3, v46
	v_lshrrev_b32_e32 v72, 20, v28
	v_lshlrev_b32_e32 v32, 3, v44
	v_mov_b32_e32 v69, s15
	v_add_co_u32_e64 v25, s[4:5], s14, v25
	v_mul_lo_u16_e32 v28, 52, v72
	v_addc_co_u32_e64 v26, s[4:5], 0, v69, s[4:5]
	v_sub_u16_e32 v73, v27, v28
	global_load_dwordx2 v[29:30], v32, s[14:15] offset:156
	global_load_dwordx2 v[27:28], v[25:26], off offset:156
	v_mul_u32_u24_e32 v25, 0x4ec5, v31
	v_lshrrev_b32_e32 v78, 20, v25
	v_mul_lo_u16_e32 v25, 52, v78
	v_sub_u16_e32 v79, v31, v25
	v_lshlrev_b16_e32 v25, 3, v79
	v_add_co_u32_e64 v25, s[4:5], s14, v25
	v_lshlrev_b16_e32 v33, 3, v73
	v_addc_co_u32_e64 v26, s[4:5], 0, v69, s[4:5]
	global_load_dwordx2 v[31:32], v[25:26], off offset:156
	v_add_co_u32_e64 v25, s[4:5], s14, v33
	v_addc_co_u32_e64 v26, s[4:5], 0, v69, s[4:5]
	global_load_dwordx2 v[33:34], v[25:26], off offset:156
	v_add_u32_e32 v25, 0x270, v58
	v_mul_u32_u24_sdwa v26, v25, s12 dst_sel:DWORD dst_unused:UNUSED_PAD src0_sel:WORD_0 src1_sel:DWORD
	v_lshrrev_b32_e32 v26, 20, v26
	v_mul_lo_u16_e32 v26, 52, v26
	v_sub_u16_e32 v80, v25, v26
	v_lshlrev_b16_e32 v25, 3, v80
	v_add_co_u32_e64 v25, s[4:5], s14, v25
	v_addc_co_u32_e64 v26, s[4:5], 0, v69, s[4:5]
	global_load_dwordx2 v[25:26], v[25:26], off offset:156
	s_waitcnt lgkmcnt(5)
	v_lshrrev_b32_e32 v70, 16, v4
	s_waitcnt lgkmcnt(4)
	v_lshrrev_b32_e32 v71, 16, v8
	v_lshrrev_b32_e32 v75, 16, v5
	s_waitcnt lgkmcnt(1)
	v_lshrrev_b32_e32 v84, 16, v7
	;; [unrolled: 3-line block ×3, first 2 shown]
	v_lshrrev_b32_e32 v76, 16, v9
	v_lshrrev_b32_e32 v69, 16, v2
	s_movk_i32 s4, 0x3aee
	s_mov_b32 s5, 0xbaee
	v_lshrrev_b32_e32 v74, 16, v3
	v_lshrrev_b32_e32 v82, 16, v10
	;; [unrolled: 1-line block ×4, first 2 shown]
	v_mul_u32_u24_e32 v43, 0x9c, v43
	s_waitcnt vmcnt(0)
	s_barrier
	s_mov_b32 s12, 0xffff
	v_mul_f16_sdwa v86, v70, v29 dst_sel:DWORD dst_unused:UNUSED_PAD src0_sel:DWORD src1_sel:WORD_1
	v_mul_f16_sdwa v87, v4, v29 dst_sel:DWORD dst_unused:UNUSED_PAD src0_sel:DWORD src1_sel:WORD_1
	v_mul_f16_sdwa v88, v71, v30 dst_sel:DWORD dst_unused:UNUSED_PAD src0_sel:DWORD src1_sel:WORD_1
	v_mul_f16_sdwa v91, v75, v27 dst_sel:DWORD dst_unused:UNUSED_PAD src0_sel:DWORD src1_sel:WORD_1
	v_fma_f16 v86, v4, v29, -v86
	v_mul_f16_sdwa v89, v8, v30 dst_sel:DWORD dst_unused:UNUSED_PAD src0_sel:DWORD src1_sel:WORD_1
	v_mul_f16_sdwa v92, v5, v27 dst_sel:DWORD dst_unused:UNUSED_PAD src0_sel:DWORD src1_sel:WORD_1
	v_fma_f16 v70, v70, v29, v87
	v_fma_f16 v8, v8, v30, -v88
	v_fma_f16 v88, v5, v27, -v91
	v_mul_f16_sdwa v93, v76, v28 dst_sel:DWORD dst_unused:UNUSED_PAD src0_sel:DWORD src1_sel:WORD_1
	v_fma_f16 v71, v71, v30, v89
	v_mul_f16_sdwa v90, v84, v31 dst_sel:DWORD dst_unused:UNUSED_PAD src0_sel:DWORD src1_sel:WORD_1
	v_mul_f16_sdwa v4, v7, v31 dst_sel:DWORD dst_unused:UNUSED_PAD src0_sel:DWORD src1_sel:WORD_1
	v_fma_f16 v87, v7, v31, -v90
	v_fma_f16 v84, v84, v31, v4
	v_mul_f16_sdwa v4, v85, v32 dst_sel:DWORD dst_unused:UNUSED_PAD src0_sel:DWORD src1_sel:WORD_1
	v_mul_f16_sdwa v95, v81, v33 dst_sel:DWORD dst_unused:UNUSED_PAD src0_sel:DWORD src1_sel:WORD_1
	;; [unrolled: 1-line block ×3, first 2 shown]
	v_fma_f16 v89, v6, v33, -v95
	v_fma_f16 v90, v11, v32, -v4
	v_mul_f16_sdwa v4, v11, v32 dst_sel:DWORD dst_unused:UNUSED_PAD src0_sel:DWORD src1_sel:WORD_1
	v_mul_f16_sdwa v94, v9, v28 dst_sel:DWORD dst_unused:UNUSED_PAD src0_sel:DWORD src1_sel:WORD_1
	v_fma_f16 v9, v9, v28, -v93
	v_fma_f16 v11, v85, v32, v4
	v_fma_f16 v75, v75, v27, v92
	v_fma_f16 v76, v76, v28, v94
	v_mul_f16_sdwa v97, v82, v34 dst_sel:DWORD dst_unused:UNUSED_PAD src0_sel:DWORD src1_sel:WORD_1
	v_mul_f16_sdwa v5, v41, v25 dst_sel:DWORD dst_unused:UNUSED_PAD src0_sel:DWORD src1_sel:WORD_1
	;; [unrolled: 1-line block ×3, first 2 shown]
	v_fma_f16 v6, v42, v25, v5
	v_mul_f16_sdwa v5, v40, v26 dst_sel:DWORD dst_unused:UNUSED_PAD src0_sel:DWORD src1_sel:WORD_1
	v_fma_f16 v7, v40, v26, v7
	v_add_f16_e32 v40, v86, v8
	v_mul_f16_sdwa v4, v42, v25 dst_sel:DWORD dst_unused:UNUSED_PAD src0_sel:DWORD src1_sel:WORD_1
	v_fma_f16 v5, v39, v26, -v5
	v_add_f16_e32 v39, v2, v86
	v_fma_f16 v2, v40, -0.5, v2
	v_sub_f16_e32 v40, v70, v71
	v_add_f16_e32 v42, v70, v71
	v_fma_f16 v4, v41, v25, -v4
	v_add_f16_e32 v39, v39, v8
	v_fma_f16 v41, v40, s4, v2
	v_fma_f16 v2, v40, s5, v2
	v_add_f16_e32 v40, v69, v70
	v_fma_f16 v42, v42, -0.5, v69
	v_sub_f16_e32 v8, v86, v8
	v_add_f16_e32 v70, v88, v9
	v_fma_f16 v69, v8, s5, v42
	v_fma_f16 v8, v8, s4, v42
	v_add_f16_e32 v42, v3, v88
	v_fma_f16 v3, v70, -0.5, v3
	v_sub_f16_e32 v70, v75, v76
	v_fma_f16 v85, v70, s4, v3
	v_fma_f16 v3, v70, s5, v3
	v_add_f16_e32 v70, v74, v75
	v_add_f16_e32 v86, v70, v76
	;; [unrolled: 1-line block ×4, first 2 shown]
	v_fma_f16 v70, v70, -0.5, v74
	v_sub_f16_e32 v9, v88, v9
	v_mul_f16_sdwa v98, v10, v34 dst_sel:DWORD dst_unused:UNUSED_PAD src0_sel:DWORD src1_sel:WORD_1
	v_fma_f16 v10, v10, v34, -v97
	v_fma_f16 v88, v9, s5, v70
	v_fma_f16 v9, v9, s4, v70
	v_add_f16_e32 v70, v0, v89
	v_fma_f16 v81, v81, v33, v96
	v_fma_f16 v82, v82, v34, v98
	v_add_f16_e32 v91, v70, v10
	v_add_f16_e32 v70, v89, v10
	v_fma_f16 v0, v70, -0.5, v0
	v_sub_f16_e32 v70, v81, v82
	v_fma_f16 v92, v70, s4, v0
	v_fma_f16 v0, v70, s5, v0
	v_add_f16_e32 v70, v77, v81
	v_add_f16_e32 v93, v70, v82
	v_add_f16_e32 v70, v81, v82
	v_fma_f16 v70, v70, -0.5, v77
	v_sub_f16_e32 v10, v89, v10
	v_fma_f16 v81, v10, s5, v70
	v_fma_f16 v10, v10, s4, v70
	v_add_f16_e32 v70, v1, v87
	v_add_f16_e32 v82, v70, v90
	v_add_f16_e32 v70, v87, v90
	v_fma_f16 v1, v70, -0.5, v1
	v_sub_f16_e32 v70, v84, v11
	v_fma_f16 v89, v70, s4, v1
	v_fma_f16 v1, v70, s5, v1
	v_add_f16_e32 v70, v83, v84
	v_add_f16_e32 v94, v70, v11
	v_add_f16_e32 v11, v84, v11
	v_fma_f16 v11, v11, -0.5, v83
	v_sub_f16_e32 v70, v87, v90
	v_fma_f16 v83, v70, s5, v11
	v_fma_f16 v11, v70, s4, v11
	v_add_f16_e32 v70, v4, v5
	v_add_f16_e32 v40, v40, v71
	v_fma_f16 v70, v70, -0.5, v37
	v_sub_f16_e32 v71, v6, v7
	v_fma_f16 v74, v71, s4, v70
	v_fma_f16 v75, v71, s5, v70
	v_add_f16_e32 v70, v6, v7
	v_fma_f16 v70, v70, -0.5, v38
	v_sub_f16_e32 v71, v4, v5
	v_fma_f16 v77, v71, s5, v70
	v_fma_f16 v76, v71, s4, v70
	s_movk_i32 s4, 0x9c
	v_add_lshl_u32 v70, v43, v44, 2
	v_pack_b32_f16 v2, v2, v8
	ds_write_b32 v70, v2 offset:416
	v_mad_legacy_u16 v2, v45, s4, v46
	v_pack_b32_f16 v39, v39, v40
	v_pack_b32_f16 v40, v41, v69
	v_lshlrev_b32_e32 v71, 2, v2
	v_pack_b32_f16 v2, v42, v86
	v_pack_b32_f16 v8, v85, v88
	ds_write2_b32 v70, v39, v40 offset1:52
	ds_write2_b32 v71, v2, v8 offset1:52
	v_pack_b32_f16 v2, v3, v9
	ds_write_b32 v71, v2 offset:416
	v_mad_legacy_u16 v2, v72, s4, v73
	v_lshlrev_b32_e32 v72, 2, v2
	v_pack_b32_f16 v0, v0, v10
	v_pack_b32_f16 v2, v91, v93
	;; [unrolled: 1-line block ×3, first 2 shown]
	ds_write_b32 v72, v0 offset:416
	v_mad_legacy_u16 v0, v78, s4, v79
	ds_write2_b32 v72, v2, v3 offset1:52
	v_lshlrev_b32_e32 v73, 2, v0
	v_pack_b32_f16 v0, v82, v94
	v_pack_b32_f16 v2, v89, v83
	ds_write2_b32 v73, v0, v2 offset1:52
	v_pack_b32_f16 v0, v1, v11
	v_lshlrev_b32_e32 v69, 2, v80
	ds_write_b32 v73, v0 offset:416
	s_and_saveexec_b64 s[4:5], vcc
	s_cbranch_execz .LBB0_9
; %bb.8:
	v_add_f16_e32 v0, v38, v6
	v_add_f16_e32 v1, v37, v4
	;; [unrolled: 1-line block ×4, first 2 shown]
	s_mov_b32 s16, 0x5040100
	v_pack_b32_f16 v0, v1, v0
	v_perm_b32 v1, v77, v74, s16
	v_add_u32_e32 v2, 0x1c00, v69
	ds_write2_b32 v2, v0, v1 offset0:80 offset1:132
	v_perm_b32 v0, v76, v75, s16
	ds_write_b32 v69, v0 offset:7904
.LBB0_9:
	s_or_b64 exec, exec, s[4:5]
	v_mad_u64_u32 v[37:38], s[4:5], v58, 48, s[14:15]
	s_waitcnt lgkmcnt(0)
	s_barrier
	global_load_dwordx4 v[0:3], v[37:38], off offset:572
	global_load_dwordx4 v[4:7], v[37:38], off offset:588
	;; [unrolled: 1-line block ×3, first 2 shown]
	ds_read2_b32 v[43:44], v47 offset1:156
	v_add_u32_e32 v39, 0x400, v47
	v_add_u32_e32 v41, 0x900, v47
	;; [unrolled: 1-line block ×5, first 2 shown]
	ds_read_b32 v86, v47 offset:7488
	ds_read2_b32 v[45:46], v39 offset0:56 offset1:212
	ds_read2_b32 v[78:79], v41 offset0:48 offset1:204
	;; [unrolled: 1-line block ×5, first 2 shown]
	s_waitcnt lgkmcnt(6)
	v_lshrrev_b32_e32 v87, 16, v44
	s_waitcnt lgkmcnt(4)
	v_lshrrev_b32_e32 v89, 16, v45
	v_lshrrev_b32_e32 v90, 16, v46
	s_waitcnt lgkmcnt(3)
	v_lshrrev_b32_e32 v91, 16, v78
	;; [unrolled: 3-line block ×5, first 2 shown]
	v_lshrrev_b32_e32 v98, 16, v85
	v_lshrrev_b32_e32 v88, 16, v86
	v_mov_b32_e32 v42, s13
	s_movk_i32 s13, 0x3b15
	s_movk_i32 s5, 0x388b
	;; [unrolled: 1-line block ×3, first 2 shown]
	s_mov_b32 s14, 0xb5ac
	s_mov_b32 s15, 0xb9fd
	;; [unrolled: 1-line block ×3, first 2 shown]
	v_addc_co_u32_e64 v42, s[0:1], 0, v42, s[0:1]
	s_movk_i32 s0, 0x1000
	s_mov_b32 s22, 0xb770
	s_mov_b32 s19, 0xba95
	s_movk_i32 s20, 0x3a95
	s_mov_b32 s25, 0xbbf1
	s_mov_b32 s18, 0xb3a8
	s_movk_i32 s24, 0x3b7b
	s_movk_i32 s23, 0x394e
	;; [unrolled: 1-line block ×4, first 2 shown]
	s_waitcnt vmcnt(2)
	v_mul_f16_sdwa v99, v87, v0 dst_sel:DWORD dst_unused:UNUSED_PAD src0_sel:DWORD src1_sel:WORD_1
	v_mul_f16_sdwa v100, v44, v0 dst_sel:DWORD dst_unused:UNUSED_PAD src0_sel:DWORD src1_sel:WORD_1
	;; [unrolled: 1-line block ×3, first 2 shown]
	v_fma_f16 v44, v44, v0, -v99
	v_mul_f16_sdwa v102, v45, v1 dst_sel:DWORD dst_unused:UNUSED_PAD src0_sel:DWORD src1_sel:WORD_1
	v_mul_f16_sdwa v103, v90, v2 dst_sel:DWORD dst_unused:UNUSED_PAD src0_sel:DWORD src1_sel:WORD_1
	v_fma_f16 v45, v45, v1, -v101
	v_add_f16_e32 v99, v43, v44
	v_mul_f16_sdwa v104, v46, v2 dst_sel:DWORD dst_unused:UNUSED_PAD src0_sel:DWORD src1_sel:WORD_1
	v_mul_f16_sdwa v105, v91, v3 dst_sel:DWORD dst_unused:UNUSED_PAD src0_sel:DWORD src1_sel:WORD_1
	v_fma_f16 v87, v87, v0, v100
	v_fma_f16 v46, v46, v2, -v103
	v_add_f16_e32 v99, v99, v45
	v_mul_f16_sdwa v106, v78, v3 dst_sel:DWORD dst_unused:UNUSED_PAD src0_sel:DWORD src1_sel:WORD_1
	s_waitcnt vmcnt(1)
	v_mul_f16_sdwa v107, v92, v4 dst_sel:DWORD dst_unused:UNUSED_PAD src0_sel:DWORD src1_sel:WORD_1
	v_fma_f16 v89, v89, v1, v102
	v_fma_f16 v78, v78, v3, -v105
	v_add_f16_sdwa v100, v43, v87 dst_sel:DWORD dst_unused:UNUSED_PAD src0_sel:WORD_1 src1_sel:DWORD
	v_add_f16_e32 v99, v99, v46
	v_mul_f16_sdwa v108, v79, v4 dst_sel:DWORD dst_unused:UNUSED_PAD src0_sel:DWORD src1_sel:WORD_1
	v_mul_f16_sdwa v109, v93, v5 dst_sel:DWORD dst_unused:UNUSED_PAD src0_sel:DWORD src1_sel:WORD_1
	v_fma_f16 v90, v90, v2, v104
	v_fma_f16 v79, v79, v4, -v107
	v_add_f16_e32 v100, v100, v89
	v_add_f16_e32 v99, v99, v78
	v_mul_f16_sdwa v110, v80, v5 dst_sel:DWORD dst_unused:UNUSED_PAD src0_sel:DWORD src1_sel:WORD_1
	v_mul_f16_sdwa v111, v94, v6 dst_sel:DWORD dst_unused:UNUSED_PAD src0_sel:DWORD src1_sel:WORD_1
	v_fma_f16 v91, v91, v3, v106
	v_fma_f16 v80, v80, v5, -v109
	v_add_f16_e32 v100, v100, v90
	;; [unrolled: 6-line block ×3, first 2 shown]
	v_add_f16_e32 v99, v99, v80
	v_mul_f16_sdwa v114, v82, v7 dst_sel:DWORD dst_unused:UNUSED_PAD src0_sel:DWORD src1_sel:WORD_1
	s_waitcnt vmcnt(0)
	v_mul_f16_sdwa v115, v96, v8 dst_sel:DWORD dst_unused:UNUSED_PAD src0_sel:DWORD src1_sel:WORD_1
	v_fma_f16 v93, v93, v5, v110
	v_fma_f16 v82, v82, v7, -v113
	v_add_f16_e32 v100, v100, v92
	v_add_f16_e32 v99, v99, v81
	v_mul_f16_sdwa v116, v83, v8 dst_sel:DWORD dst_unused:UNUSED_PAD src0_sel:DWORD src1_sel:WORD_1
	v_mul_f16_sdwa v117, v97, v9 dst_sel:DWORD dst_unused:UNUSED_PAD src0_sel:DWORD src1_sel:WORD_1
	v_fma_f16 v94, v94, v6, v112
	v_fma_f16 v83, v83, v8, -v115
	v_add_f16_e32 v100, v100, v93
	v_add_f16_e32 v99, v99, v82
	v_mul_f16_sdwa v118, v84, v9 dst_sel:DWORD dst_unused:UNUSED_PAD src0_sel:DWORD src1_sel:WORD_1
	;; [unrolled: 6-line block ×3, first 2 shown]
	v_mul_f16_sdwa v121, v88, v11 dst_sel:DWORD dst_unused:UNUSED_PAD src0_sel:DWORD src1_sel:WORD_1
	v_mul_f16_sdwa v122, v86, v11 dst_sel:DWORD dst_unused:UNUSED_PAD src0_sel:DWORD src1_sel:WORD_1
	v_fma_f16 v96, v96, v8, v116
	v_fma_f16 v85, v85, v10, -v119
	v_add_f16_e32 v100, v100, v95
	v_add_f16_e32 v99, v99, v84
	v_fma_f16 v97, v97, v9, v118
	v_fma_f16 v86, v86, v11, -v121
	v_fma_f16 v88, v88, v11, v122
	v_add_f16_e32 v100, v100, v96
	v_add_f16_e32 v99, v99, v85
	v_fma_f16 v98, v98, v10, v120
	v_add_f16_e32 v100, v100, v97
	v_add_f16_e32 v99, v99, v86
	;; [unrolled: 1-line block ×3, first 2 shown]
	v_sub_f16_e32 v44, v44, v86
	v_sub_f16_e32 v86, v87, v88
	v_add_f16_e32 v100, v100, v98
	v_add_f16_e32 v102, v87, v88
	v_mul_f16_e32 v87, 0xb770, v86
	v_mul_f16_e32 v103, 0xb770, v44
	;; [unrolled: 1-line block ×12, first 2 shown]
	v_add_f16_e32 v100, v100, v88
	v_fma_f16 v88, v101, s13, -v87
	v_fma_f16 v104, v102, s13, v103
	v_fma_f16 v87, v101, s13, v87
	v_fma_f16 v103, v102, s13, -v103
	v_fma_f16 v106, v101, s5, -v105
	v_fma_f16 v108, v102, s5, v107
	v_fma_f16 v105, v101, s5, v105
	v_fma_f16 v107, v102, s5, -v107
	;; [unrolled: 4-line block ×6, first 2 shown]
	v_add_f16_e32 v88, v43, v88
	v_add_f16_sdwa v104, v43, v104 dst_sel:DWORD dst_unused:UNUSED_PAD src0_sel:WORD_1 src1_sel:DWORD
	v_add_f16_e32 v87, v43, v87
	v_add_f16_sdwa v103, v43, v103 dst_sel:DWORD dst_unused:UNUSED_PAD src0_sel:WORD_1 src1_sel:DWORD
	;; [unrolled: 2-line block ×12, first 2 shown]
	v_add_f16_e32 v44, v45, v85
	v_sub_f16_e32 v45, v45, v85
	v_sub_f16_e32 v85, v89, v98
	v_add_f16_e32 v101, v89, v98
	v_mul_f16_e32 v89, 0xba95, v85
	v_fma_f16 v98, v44, s5, -v89
	v_add_f16_e32 v88, v98, v88
	v_mul_f16_e32 v98, 0xba95, v45
	v_fma_f16 v89, v44, s5, v89
	v_fma_f16 v102, v101, s5, v98
	v_add_f16_e32 v87, v89, v87
	v_fma_f16 v89, v101, s5, -v98
	v_mul_f16_e32 v98, 0xbb7b, v85
	v_add_f16_e32 v102, v102, v104
	v_add_f16_e32 v89, v89, v103
	v_fma_f16 v103, v44, s14, -v98
	v_mul_f16_e32 v104, 0xbb7b, v45
	v_fma_f16 v98, v44, s14, v98
	v_add_f16_e32 v103, v103, v106
	v_fma_f16 v106, v101, s14, v104
	v_add_f16_e32 v98, v98, v105
	v_fma_f16 v104, v101, s14, -v104
	v_mul_f16_e32 v105, 0xb3a8, v85
	v_add_f16_e32 v106, v106, v108
	v_add_f16_e32 v104, v104, v107
	v_fma_f16 v107, v44, s16, -v105
	v_mul_f16_e32 v108, 0xb3a8, v45
	v_fma_f16 v105, v44, s16, v105
	v_add_f16_e32 v107, v107, v110
	;; [unrolled: 10-line block ×3, first 2 shown]
	v_fma_f16 v114, v101, s15, v112
	v_add_f16_e32 v109, v109, v113
	v_fma_f16 v112, v101, s15, -v112
	v_mul_f16_e32 v113, 0x3bf1, v85
	v_add_f16_e32 v114, v114, v116
	v_add_f16_e32 v112, v112, v115
	v_fma_f16 v115, v44, s4, -v113
	v_mul_f16_e32 v116, 0x3bf1, v45
	v_add_f16_e32 v115, v115, v118
	v_fma_f16 v118, v101, s4, v116
	v_fma_f16 v116, v101, s4, -v116
	v_mul_f16_e32 v45, 0x3770, v45
	v_fma_f16 v113, v44, s4, v113
	v_add_f16_e32 v116, v116, v119
	v_mul_f16_e32 v85, 0x3770, v85
	v_fma_f16 v119, v101, s13, v45
	v_fma_f16 v45, v101, s13, -v45
	v_add_f16_e32 v113, v113, v117
	v_fma_f16 v117, v44, s13, -v85
	v_fma_f16 v44, v44, s13, v85
	v_add_f16_e32 v43, v45, v43
	v_add_f16_e32 v45, v46, v84
	v_sub_f16_e32 v46, v46, v84
	v_sub_f16_e32 v84, v90, v97
	v_add_f16_e32 v44, v44, v86
	v_mul_f16_e32 v86, 0xbbf1, v84
	v_add_f16_e32 v85, v90, v97
	v_fma_f16 v90, v45, s4, -v86
	v_add_f16_e32 v88, v90, v88
	v_mul_f16_e32 v90, 0xbbf1, v46
	v_fma_f16 v86, v45, s4, v86
	v_add_f16_e32 v86, v86, v87
	v_fma_f16 v87, v85, s4, -v90
	v_add_f16_e32 v87, v87, v89
	v_mul_f16_e32 v89, 0xb3a8, v84
	v_fma_f16 v97, v85, s4, v90
	v_fma_f16 v90, v45, s16, -v89
	v_mul_f16_e32 v101, 0xb3a8, v46
	v_fma_f16 v89, v45, s16, v89
	v_add_f16_e32 v97, v97, v102
	v_fma_f16 v102, v85, s16, v101
	v_add_f16_e32 v89, v89, v98
	v_fma_f16 v98, v85, s16, -v101
	v_mul_f16_e32 v101, 0x3b7b, v84
	v_add_f16_e32 v90, v90, v103
	v_fma_f16 v103, v45, s14, -v101
	v_fma_f16 v101, v45, s14, v101
	v_add_f16_e32 v98, v98, v104
	v_mul_f16_e32 v104, 0x3b7b, v46
	v_add_f16_e32 v101, v101, v105
	v_mul_f16_e32 v105, 0x3770, v84
	v_add_f16_e32 v102, v102, v106
	v_add_f16_e32 v103, v103, v107
	v_fma_f16 v106, v85, s14, v104
	v_fma_f16 v104, v85, s14, -v104
	v_fma_f16 v107, v45, s13, -v105
	v_fma_f16 v105, v45, s13, v105
	v_add_f16_e32 v104, v104, v108
	v_mul_f16_e32 v108, 0x3770, v46
	v_add_f16_e32 v105, v105, v109
	v_mul_f16_e32 v109, 0xba95, v84
	v_add_f16_e32 v106, v106, v110
	v_add_f16_e32 v107, v107, v111
	v_fma_f16 v110, v85, s13, v108
	v_fma_f16 v108, v85, s13, -v108
	v_fma_f16 v111, v45, s5, -v109
	v_fma_f16 v109, v45, s5, v109
	v_mul_f16_e32 v84, 0xb94e, v84
	v_add_f16_e32 v108, v108, v112
	v_mul_f16_e32 v112, 0xba95, v46
	v_add_f16_e32 v109, v109, v113
	v_fma_f16 v113, v45, s15, -v84
	v_mul_f16_e32 v46, 0xb94e, v46
	v_fma_f16 v45, v45, s15, v84
	v_add_f16_e32 v44, v45, v44
	v_fma_f16 v45, v85, s15, -v46
	v_add_f16_e32 v43, v45, v43
	v_add_f16_e32 v45, v78, v83
	v_sub_f16_e32 v78, v78, v83
	v_sub_f16_e32 v83, v91, v96
	v_mul_f16_e32 v84, 0xbb7b, v83
	v_add_f16_e32 v110, v110, v114
	v_add_f16_e32 v111, v111, v115
	v_fma_f16 v114, v85, s5, v112
	v_fma_f16 v112, v85, s5, -v112
	v_fma_f16 v115, v85, s15, v46
	v_fma_f16 v85, v45, s14, -v84
	v_add_f16_e32 v46, v91, v96
	v_add_f16_e32 v85, v85, v88
	v_mul_f16_e32 v88, 0xbb7b, v78
	v_fma_f16 v84, v45, s14, v84
	v_add_f16_e32 v84, v84, v86
	v_fma_f16 v86, v46, s14, -v88
	v_add_f16_e32 v86, v86, v87
	v_mul_f16_e32 v87, 0x394e, v83
	v_fma_f16 v91, v46, s14, v88
	v_fma_f16 v88, v45, s15, -v87
	v_add_f16_e32 v88, v88, v90
	v_mul_f16_e32 v90, 0x394e, v78
	v_fma_f16 v87, v45, s15, v87
	v_fma_f16 v96, v46, s15, v90
	v_add_f16_e32 v87, v87, v89
	v_fma_f16 v89, v46, s15, -v90
	v_mul_f16_e32 v90, 0x3770, v83
	v_add_f16_e32 v91, v91, v97
	v_fma_f16 v97, v45, s13, -v90
	v_fma_f16 v90, v45, s13, v90
	v_add_f16_e32 v89, v89, v98
	v_mul_f16_e32 v98, 0x3770, v78
	v_add_f16_e32 v90, v90, v101
	v_mul_f16_e32 v101, 0xbbf1, v83
	v_add_f16_e32 v96, v96, v102
	v_add_f16_e32 v97, v97, v103
	v_fma_f16 v102, v46, s13, v98
	v_fma_f16 v98, v46, s13, -v98
	v_fma_f16 v103, v45, s4, -v101
	v_fma_f16 v101, v45, s4, v101
	v_add_f16_e32 v98, v98, v104
	v_mul_f16_e32 v104, 0xbbf1, v78
	v_add_f16_e32 v101, v101, v105
	v_mul_f16_e32 v105, 0x33a8, v83
	v_add_f16_e32 v102, v102, v106
	v_add_f16_e32 v103, v103, v107
	v_fma_f16 v106, v46, s4, v104
	v_fma_f16 v104, v46, s4, -v104
	v_fma_f16 v107, v45, s16, -v105
	v_fma_f16 v105, v45, s16, v105
	v_mul_f16_e32 v83, 0x3a95, v83
	v_add_f16_e32 v104, v104, v108
	v_mul_f16_e32 v108, 0x33a8, v78
	v_add_f16_e32 v105, v105, v109
	v_fma_f16 v109, v45, s5, -v83
	v_mul_f16_e32 v78, 0x3a95, v78
	v_fma_f16 v45, v45, s5, v83
	v_add_f16_e32 v44, v45, v44
	v_fma_f16 v45, v46, s5, -v78
	v_add_f16_e32 v107, v107, v111
	v_fma_f16 v111, v46, s5, v78
	v_add_f16_e32 v43, v45, v43
	v_add_f16_e32 v45, v79, v82
	v_sub_f16_e32 v78, v79, v82
	v_sub_f16_e32 v79, v92, v95
	v_mul_f16_e32 v82, 0xb94e, v79
	v_fma_f16 v83, v45, s15, -v82
	v_add_f16_e32 v106, v106, v110
	v_fma_f16 v110, v46, s16, v108
	v_fma_f16 v108, v46, s16, -v108
	v_add_f16_e32 v46, v92, v95
	v_add_f16_e32 v83, v83, v85
	v_mul_f16_e32 v85, 0xb94e, v78
	v_fma_f16 v82, v45, s15, v82
	v_fma_f16 v92, v46, s15, v85
	v_add_f16_e32 v82, v82, v84
	v_fma_f16 v84, v46, s15, -v85
	v_mul_f16_e32 v85, 0x3bf1, v79
	v_add_f16_e32 v84, v84, v86
	v_fma_f16 v86, v45, s4, -v85
	v_add_f16_e32 v86, v86, v88
	v_mul_f16_e32 v88, 0x3bf1, v78
	v_fma_f16 v85, v45, s4, v85
	v_add_f16_e32 v91, v92, v91
	v_fma_f16 v92, v46, s4, v88
	v_add_f16_e32 v85, v85, v87
	v_fma_f16 v87, v46, s4, -v88
	v_mul_f16_e32 v88, 0xba95, v79
	v_add_f16_e32 v87, v87, v89
	v_fma_f16 v89, v45, s5, -v88
	v_mul_f16_e32 v95, 0xba95, v78
	v_fma_f16 v88, v45, s5, v88
	v_add_f16_e32 v92, v92, v96
	v_fma_f16 v96, v46, s5, v95
	v_add_f16_e32 v88, v88, v90
	v_fma_f16 v90, v46, s5, -v95
	v_mul_f16_e32 v95, 0x33a8, v79
	v_add_f16_e32 v89, v89, v97
	v_fma_f16 v97, v45, s16, -v95
	v_fma_f16 v95, v45, s16, v95
	v_add_f16_e32 v90, v90, v98
	v_mul_f16_e32 v98, 0x33a8, v78
	v_add_f16_e32 v95, v95, v101
	v_mul_f16_e32 v101, 0x3770, v79
	v_add_f16_e32 v96, v96, v102
	v_add_f16_e32 v97, v97, v103
	v_fma_f16 v102, v46, s16, v98
	v_fma_f16 v98, v46, s16, -v98
	v_fma_f16 v103, v45, s13, -v101
	v_fma_f16 v101, v45, s13, v101
	v_mul_f16_e32 v79, 0xbb7b, v79
	v_add_f16_e32 v98, v98, v104
	v_mul_f16_e32 v104, 0x3770, v78
	v_add_f16_e32 v101, v101, v105
	v_fma_f16 v105, v45, s14, -v79
	v_mul_f16_e32 v78, 0xbb7b, v78
	v_fma_f16 v45, v45, s14, v79
	v_add_f16_e32 v44, v45, v44
	v_fma_f16 v45, v46, s14, -v78
	v_sub_f16_e32 v79, v93, v94
	v_add_f16_e32 v103, v103, v107
	v_fma_f16 v107, v46, s14, v78
	v_add_f16_e32 v43, v45, v43
	v_add_f16_e32 v45, v80, v81
	v_sub_f16_e32 v78, v80, v81
	v_mul_f16_e32 v80, 0xb3a8, v79
	v_fma_f16 v81, v45, s16, -v80
	v_add_f16_e32 v102, v102, v106
	v_fma_f16 v106, v46, s13, v104
	v_fma_f16 v104, v46, s13, -v104
	v_add_f16_e32 v46, v93, v94
	v_add_f16_e32 v81, v81, v83
	v_mul_f16_e32 v83, 0xb3a8, v78
	v_fma_f16 v80, v45, s16, v80
	v_fma_f16 v93, v46, s16, v83
	v_add_f16_e32 v80, v80, v82
	v_fma_f16 v82, v46, s16, -v83
	v_mul_f16_e32 v83, 0x3770, v79
	v_add_f16_e32 v82, v82, v84
	v_fma_f16 v84, v45, s13, -v83
	v_add_f16_e32 v84, v84, v86
	v_mul_f16_e32 v86, 0x3770, v78
	v_fma_f16 v83, v45, s13, v83
	v_add_f16_e32 v91, v93, v91
	v_fma_f16 v93, v46, s13, v86
	v_add_f16_e32 v83, v83, v85
	v_fma_f16 v85, v46, s13, -v86
	v_mul_f16_e32 v86, 0xb94e, v79
	v_add_f16_e32 v85, v85, v87
	v_fma_f16 v87, v45, s15, -v86
	v_add_f16_e32 v87, v87, v89
	v_mul_f16_e32 v89, 0xb94e, v78
	v_fma_f16 v86, v45, s15, v86
	v_add_f16_e32 v92, v93, v92
	v_fma_f16 v93, v46, s15, v89
	v_add_f16_e32 v86, v86, v88
	v_fma_f16 v88, v46, s15, -v89
	v_mul_f16_e32 v89, 0x3a95, v79
	v_add_f16_e32 v88, v88, v90
	v_fma_f16 v90, v45, s5, -v89
	v_fma_f16 v89, v45, s5, v89
	v_mul_f16_e32 v94, 0x3a95, v78
	v_add_f16_e32 v89, v89, v95
	v_mul_f16_e32 v95, 0xbb7b, v79
	v_add_f16_e32 v118, v118, v120
	v_add_f16_e32 v93, v93, v96
	;; [unrolled: 1-line block ×3, first 2 shown]
	v_fma_f16 v96, v46, s5, v94
	v_fma_f16 v94, v46, s5, -v94
	v_fma_f16 v97, v45, s14, -v95
	v_fma_f16 v95, v45, s14, v95
	v_mul_f16_e32 v79, 0x3bf1, v79
	v_add_f16_e32 v117, v117, v121
	v_add_f16_e32 v119, v119, v122
	v_add_f16_e32 v114, v114, v118
	v_add_f16_e32 v94, v94, v98
	v_mul_f16_e32 v98, 0xbb7b, v78
	v_add_f16_e32 v95, v95, v101
	v_fma_f16 v101, v45, s4, -v79
	v_mul_f16_e32 v78, 0x3bf1, v78
	v_fma_f16 v45, v45, s4, v79
	v_add_f16_e32 v113, v113, v117
	v_add_f16_e32 v115, v115, v119
	;; [unrolled: 1-line block ×4, first 2 shown]
	v_fma_f16 v45, v46, s4, -v78
	v_add_f16_e32 v112, v112, v116
	v_add_f16_e32 v109, v109, v113
	;; [unrolled: 1-line block ×6, first 2 shown]
	v_fma_f16 v102, v46, s14, v98
	v_fma_f16 v98, v46, s14, -v98
	v_fma_f16 v103, v46, s4, v78
	v_add_f16_e32 v43, v45, v43
	v_pack_b32_f16 v45, v99, v100
	v_pack_b32_f16 v46, v81, v91
	v_add_f16_e32 v108, v108, v112
	v_add_f16_e32 v105, v105, v109
	;; [unrolled: 1-line block ×4, first 2 shown]
	ds_write2_b32 v47, v45, v46 offset1:156
	v_pack_b32_f16 v45, v84, v92
	v_pack_b32_f16 v46, v87, v93
	v_add_f16_e32 v104, v104, v108
	v_add_f16_e32 v101, v101, v105
	;; [unrolled: 1-line block ×3, first 2 shown]
	ds_write2_b32 v39, v45, v46 offset0:56 offset1:212
	v_pack_b32_f16 v45, v90, v96
	v_pack_b32_f16 v46, v97, v102
	v_add_f16_e32 v98, v98, v104
	ds_write2_b32 v41, v45, v46 offset0:48 offset1:204
	v_pack_b32_f16 v45, v101, v103
	v_pack_b32_f16 v43, v44, v43
	ds_write2_b32 v37, v45, v43 offset0:40 offset1:196
	v_pack_b32_f16 v43, v95, v98
	v_pack_b32_f16 v44, v89, v94
	;; [unrolled: 3-line block ×3, first 2 shown]
	ds_write2_b32 v40, v43, v44 offset0:24 offset1:180
	v_pack_b32_f16 v43, v80, v82
	ds_write_b32 v47, v43 offset:7488
	v_add_co_u32_e64 v43, s[0:1], s0, v36
	v_addc_co_u32_e64 v44, s[0:1], 0, v42, s[0:1]
	s_waitcnt lgkmcnt(0)
	s_barrier
	global_load_dword v78, v[43:44], off offset:4016
	s_movk_i32 s0, 0x1fb0
	v_add_co_u32_e64 v43, s[0:1], s0, v36
	v_addc_co_u32_e64 v44, s[0:1], 0, v42, s[0:1]
	global_load_dword v79, v[43:44], off offset:624
	global_load_dword v80, v[43:44], off offset:1248
	global_load_dword v81, v[43:44], off offset:1872
	global_load_dword v82, v[43:44], off offset:2496
	global_load_dword v83, v[43:44], off offset:3120
	s_movk_i32 s0, 0x3000
	v_add_co_u32_e64 v45, s[0:1], s0, v36
	v_addc_co_u32_e64 v46, s[0:1], 0, v42, s[0:1]
	global_load_dword v36, v[45:46], off offset:192
	global_load_dword v84, v[43:44], off offset:3744
	;; [unrolled: 1-line block ×6, first 2 shown]
	ds_read2_b32 v[42:43], v47 offset1:156
	global_load_dword v46, v[45:46], off offset:3312
	s_mov_b32 s0, 0xbb7b
	s_movk_i32 s1, 0x3bf1
	s_waitcnt lgkmcnt(0)
	v_lshrrev_b32_e32 v44, 16, v42
	s_waitcnt vmcnt(12)
	v_mul_f16_sdwa v88, v44, v78 dst_sel:DWORD dst_unused:UNUSED_PAD src0_sel:DWORD src1_sel:WORD_1
	v_fma_f16 v88, v42, v78, -v88
	v_mul_f16_sdwa v42, v42, v78 dst_sel:DWORD dst_unused:UNUSED_PAD src0_sel:DWORD src1_sel:WORD_1
	v_fma_f16 v42, v44, v78, v42
	v_lshrrev_b32_e32 v44, 16, v43
	s_waitcnt vmcnt(11)
	v_mul_f16_sdwa v78, v44, v79 dst_sel:DWORD dst_unused:UNUSED_PAD src0_sel:DWORD src1_sel:WORD_1
	v_fma_f16 v78, v43, v79, -v78
	v_mul_f16_sdwa v43, v43, v79 dst_sel:DWORD dst_unused:UNUSED_PAD src0_sel:DWORD src1_sel:WORD_1
	v_fma_f16 v43, v44, v79, v43
	v_pack_b32_f16 v42, v88, v42
	v_pack_b32_f16 v43, v78, v43
	ds_write2_b32 v47, v42, v43 offset1:156
	ds_read2_b32 v[42:43], v39 offset0:56 offset1:212
	s_waitcnt lgkmcnt(0)
	v_lshrrev_b32_e32 v44, 16, v42
	s_waitcnt vmcnt(10)
	v_mul_f16_sdwa v45, v44, v80 dst_sel:DWORD dst_unused:UNUSED_PAD src0_sel:DWORD src1_sel:WORD_1
	v_fma_f16 v45, v42, v80, -v45
	v_mul_f16_sdwa v42, v42, v80 dst_sel:DWORD dst_unused:UNUSED_PAD src0_sel:DWORD src1_sel:WORD_1
	v_lshrrev_b32_e32 v78, 16, v43
	v_fma_f16 v42, v44, v80, v42
	s_waitcnt vmcnt(9)
	v_mul_f16_sdwa v44, v78, v81 dst_sel:DWORD dst_unused:UNUSED_PAD src0_sel:DWORD src1_sel:WORD_1
	v_pack_b32_f16 v42, v45, v42
	v_fma_f16 v79, v43, v81, -v44
	ds_read2_b32 v[44:45], v41 offset0:48 offset1:204
	v_mul_f16_sdwa v43, v43, v81 dst_sel:DWORD dst_unused:UNUSED_PAD src0_sel:DWORD src1_sel:WORD_1
	v_fma_f16 v43, v78, v81, v43
	v_pack_b32_f16 v43, v79, v43
	ds_write2_b32 v39, v42, v43 offset0:56 offset1:212
	s_waitcnt lgkmcnt(1)
	v_lshrrev_b32_e32 v42, 16, v44
	s_waitcnt vmcnt(8)
	v_mul_f16_sdwa v43, v42, v82 dst_sel:DWORD dst_unused:UNUSED_PAD src0_sel:DWORD src1_sel:WORD_1
	v_fma_f16 v43, v44, v82, -v43
	v_mul_f16_sdwa v44, v44, v82 dst_sel:DWORD dst_unused:UNUSED_PAD src0_sel:DWORD src1_sel:WORD_1
	v_fma_f16 v42, v42, v82, v44
	v_lshrrev_b32_e32 v78, 16, v45
	v_pack_b32_f16 v44, v43, v42
	s_waitcnt vmcnt(7)
	v_mul_f16_sdwa v42, v78, v83 dst_sel:DWORD dst_unused:UNUSED_PAD src0_sel:DWORD src1_sel:WORD_1
	v_fma_f16 v79, v45, v83, -v42
	ds_read2_b32 v[42:43], v37 offset0:40 offset1:196
	v_mul_f16_sdwa v45, v45, v83 dst_sel:DWORD dst_unused:UNUSED_PAD src0_sel:DWORD src1_sel:WORD_1
	v_fma_f16 v45, v78, v83, v45
	v_pack_b32_f16 v45, v79, v45
	ds_write2_b32 v41, v44, v45 offset0:48 offset1:204
	s_waitcnt lgkmcnt(1)
	v_lshrrev_b32_e32 v44, 16, v42
	s_waitcnt vmcnt(5)
	v_mul_f16_sdwa v45, v44, v84 dst_sel:DWORD dst_unused:UNUSED_PAD src0_sel:DWORD src1_sel:WORD_1
	v_fma_f16 v45, v42, v84, -v45
	v_mul_f16_sdwa v42, v42, v84 dst_sel:DWORD dst_unused:UNUSED_PAD src0_sel:DWORD src1_sel:WORD_1
	v_lshrrev_b32_e32 v78, 16, v43
	v_fma_f16 v42, v44, v84, v42
	v_mul_f16_sdwa v44, v78, v36 dst_sel:DWORD dst_unused:UNUSED_PAD src0_sel:DWORD src1_sel:WORD_1
	v_pack_b32_f16 v42, v45, v42
	v_fma_f16 v79, v43, v36, -v44
	ds_read2_b32 v[44:45], v38 offset0:96 offset1:252
	v_mul_f16_sdwa v43, v43, v36 dst_sel:DWORD dst_unused:UNUSED_PAD src0_sel:DWORD src1_sel:WORD_1
	v_fma_f16 v36, v78, v36, v43
	v_pack_b32_f16 v36, v79, v36
	ds_write2_b32 v37, v42, v36 offset0:40 offset1:196
	s_waitcnt lgkmcnt(1)
	v_lshrrev_b32_e32 v36, 16, v44
	s_waitcnt vmcnt(4)
	v_mul_f16_sdwa v42, v36, v85 dst_sel:DWORD dst_unused:UNUSED_PAD src0_sel:DWORD src1_sel:WORD_1
	v_mul_f16_sdwa v43, v44, v85 dst_sel:DWORD dst_unused:UNUSED_PAD src0_sel:DWORD src1_sel:WORD_1
	v_fma_f16 v42, v44, v85, -v42
	v_fma_f16 v36, v36, v85, v43
	v_lshrrev_b32_e32 v44, 16, v45
	v_pack_b32_f16 v36, v42, v36
	s_waitcnt vmcnt(3)
	v_mul_f16_sdwa v42, v44, v86 dst_sel:DWORD dst_unused:UNUSED_PAD src0_sel:DWORD src1_sel:WORD_1
	v_fma_f16 v78, v45, v86, -v42
	ds_read2_b32 v[42:43], v40 offset0:24 offset1:180
	v_mul_f16_sdwa v45, v45, v86 dst_sel:DWORD dst_unused:UNUSED_PAD src0_sel:DWORD src1_sel:WORD_1
	v_fma_f16 v44, v44, v86, v45
	v_pack_b32_f16 v44, v78, v44
	ds_write2_b32 v38, v36, v44 offset0:96 offset1:252
	s_waitcnt lgkmcnt(1)
	v_lshrrev_b32_e32 v36, 16, v42
	s_waitcnt vmcnt(2)
	v_mul_f16_sdwa v44, v36, v87 dst_sel:DWORD dst_unused:UNUSED_PAD src0_sel:DWORD src1_sel:WORD_1
	v_fma_f16 v44, v42, v87, -v44
	v_mul_f16_sdwa v42, v42, v87 dst_sel:DWORD dst_unused:UNUSED_PAD src0_sel:DWORD src1_sel:WORD_1
	v_fma_f16 v36, v36, v87, v42
	v_lshrrev_b32_e32 v42, 16, v43
	ds_read_b32 v45, v47 offset:7488
	v_pack_b32_f16 v36, v44, v36
	s_waitcnt vmcnt(1)
	v_mul_f16_sdwa v44, v42, v89 dst_sel:DWORD dst_unused:UNUSED_PAD src0_sel:DWORD src1_sel:WORD_1
	v_fma_f16 v44, v43, v89, -v44
	v_mul_f16_sdwa v43, v43, v89 dst_sel:DWORD dst_unused:UNUSED_PAD src0_sel:DWORD src1_sel:WORD_1
	v_fma_f16 v42, v42, v89, v43
	v_pack_b32_f16 v42, v44, v42
	ds_write2_b32 v40, v36, v42 offset0:24 offset1:180
	s_waitcnt lgkmcnt(1)
	v_lshrrev_b32_e32 v36, 16, v45
	s_waitcnt vmcnt(0)
	v_mul_f16_sdwa v42, v36, v46 dst_sel:DWORD dst_unused:UNUSED_PAD src0_sel:DWORD src1_sel:WORD_1
	v_mul_f16_sdwa v43, v45, v46 dst_sel:DWORD dst_unused:UNUSED_PAD src0_sel:DWORD src1_sel:WORD_1
	v_fma_f16 v42, v45, v46, -v42
	v_fma_f16 v36, v36, v46, v43
	v_pack_b32_f16 v36, v42, v36
	ds_write_b32 v47, v36 offset:7488
	s_waitcnt lgkmcnt(0)
	s_barrier
	ds_read2_b32 v[42:43], v39 offset0:56 offset1:212
	ds_read2_b32 v[44:45], v41 offset0:48 offset1:204
	ds_read2_b32 v[78:79], v47 offset1:156
	ds_read2_b32 v[36:37], v37 offset0:40 offset1:196
	ds_read2_b32 v[80:81], v38 offset0:96 offset1:252
	ds_read2_b32 v[40:41], v40 offset0:24 offset1:180
	ds_read_b32 v38, v47 offset:7488
	s_waitcnt lgkmcnt(4)
	v_pk_add_f16 v46, v78, v79
	v_pk_add_f16 v46, v46, v42
	;; [unrolled: 1-line block ×5, first 2 shown]
	s_waitcnt lgkmcnt(3)
	v_pk_add_f16 v46, v46, v36
	v_pk_add_f16 v46, v46, v37
	s_waitcnt lgkmcnt(2)
	v_pk_add_f16 v46, v46, v80
	v_pk_add_f16 v46, v46, v81
	;; [unrolled: 3-line block ×4, first 2 shown]
	v_pk_add_f16 v38, v79, v38 neg_lo:[0,1] neg_hi:[0,1]
	v_pk_mul_f16 v79, v38, s22 op_sel_hi:[1,0]
	v_pk_add_f16 v101, v41, v42
	v_pk_add_f16 v41, v42, v41 neg_lo:[0,1] neg_hi:[0,1]
	v_pk_fma_f16 v83, v82, s13, v79 op_sel:[0,0,1] op_sel_hi:[1,0,0]
	v_pk_fma_f16 v79, v82, s13, v79 op_sel:[0,0,1] op_sel_hi:[1,0,0] neg_lo:[0,0,1] neg_hi:[0,0,1]
	v_pk_mul_f16 v42, v41, s19 op_sel_hi:[1,0]
	v_bfi_b32 v84, s12, v83, v79
	v_pk_fma_f16 v102, v101, s5, v42 op_sel:[0,0,1] op_sel_hi:[1,0,0]
	v_pk_fma_f16 v42, v101, s5, v42 op_sel:[0,0,1] op_sel_hi:[1,0,0] neg_lo:[0,0,1] neg_hi:[0,0,1]
	v_pk_add_f16 v84, v78, v84
	v_mul_f16_sdwa v85, v38, s19 dst_sel:DWORD dst_unused:UNUSED_PAD src0_sel:WORD_1 src1_sel:DWORD
	v_bfi_b32 v103, s12, v102, v42
	v_fma_f16 v86, v82, s5, v85
	v_pk_add_f16 v84, v103, v84
	v_mul_f16_sdwa v103, v41, s0 dst_sel:DWORD dst_unused:UNUSED_PAD src0_sel:WORD_1 src1_sel:DWORD
	v_add_f16_e32 v86, v78, v86
	v_mul_f16_sdwa v87, v82, s5 dst_sel:DWORD dst_unused:UNUSED_PAD src0_sel:WORD_1 src1_sel:DWORD
	v_fma_f16 v85, v82, s5, -v85
	v_fma_f16 v104, v101, s14, v103
	v_fma_f16 v88, v38, s20, v87
	v_add_f16_e32 v85, v78, v85
	v_fma_f16 v87, v38, s19, v87
	v_add_f16_e32 v86, v104, v86
	v_mul_f16_sdwa v104, v101, s14 dst_sel:DWORD dst_unused:UNUSED_PAD src0_sel:WORD_1 src1_sel:DWORD
	v_fma_f16 v103, v101, s14, -v103
	v_add_f16_sdwa v87, v78, v87 dst_sel:DWORD dst_unused:UNUSED_PAD src0_sel:WORD_1 src1_sel:DWORD
	v_mul_f16_sdwa v89, v38, s25 dst_sel:DWORD dst_unused:UNUSED_PAD src0_sel:WORD_1 src1_sel:DWORD
	v_add_f16_e32 v85, v103, v85
	v_fma_f16 v103, v41, s0, v104
	v_fma_f16 v90, v82, s4, v89
	v_add_f16_e32 v87, v103, v87
	v_mul_f16_sdwa v103, v41, s18 dst_sel:DWORD dst_unused:UNUSED_PAD src0_sel:WORD_1 src1_sel:DWORD
	v_add_f16_e32 v90, v78, v90
	v_mul_f16_sdwa v91, v82, s4 dst_sel:DWORD dst_unused:UNUSED_PAD src0_sel:WORD_1 src1_sel:DWORD
	v_fma_f16 v89, v82, s4, -v89
	v_fma_f16 v105, v41, s24, v104
	v_fma_f16 v104, v101, s16, v103
	;; [unrolled: 1-line block ×3, first 2 shown]
	v_add_f16_e32 v89, v78, v89
	v_fma_f16 v91, v38, s25, v91
	v_add_f16_e32 v90, v104, v90
	v_mul_f16_sdwa v104, v101, s16 dst_sel:DWORD dst_unused:UNUSED_PAD src0_sel:WORD_1 src1_sel:DWORD
	v_fma_f16 v103, v101, s16, -v103
	v_add_f16_sdwa v91, v78, v91 dst_sel:DWORD dst_unused:UNUSED_PAD src0_sel:WORD_1 src1_sel:DWORD
	v_mul_f16_sdwa v93, v38, s0 dst_sel:DWORD dst_unused:UNUSED_PAD src0_sel:WORD_1 src1_sel:DWORD
	v_add_f16_e32 v89, v103, v89
	v_fma_f16 v103, v41, s18, v104
	v_add_f16_sdwa v88, v78, v88 dst_sel:DWORD dst_unused:UNUSED_PAD src0_sel:WORD_1 src1_sel:DWORD
	v_fma_f16 v94, v82, s14, v93
	v_add_f16_e32 v91, v103, v91
	v_mul_f16_sdwa v103, v41, s23 dst_sel:DWORD dst_unused:UNUSED_PAD src0_sel:WORD_1 src1_sel:DWORD
	v_add_f16_e32 v94, v78, v94
	v_mul_f16_sdwa v95, v82, s14 dst_sel:DWORD dst_unused:UNUSED_PAD src0_sel:WORD_1 src1_sel:DWORD
	v_fma_f16 v93, v82, s14, -v93
	v_add_f16_e32 v88, v105, v88
	v_fma_f16 v105, v41, s26, v104
	v_fma_f16 v104, v101, s15, v103
	;; [unrolled: 1-line block ×3, first 2 shown]
	v_add_f16_e32 v93, v78, v93
	v_fma_f16 v95, v38, s0, v95
	v_add_f16_e32 v94, v104, v94
	v_mul_f16_sdwa v104, v101, s15 dst_sel:DWORD dst_unused:UNUSED_PAD src0_sel:WORD_1 src1_sel:DWORD
	v_fma_f16 v103, v101, s15, -v103
	v_add_f16_sdwa v95, v78, v95 dst_sel:DWORD dst_unused:UNUSED_PAD src0_sel:WORD_1 src1_sel:DWORD
	v_mul_f16_sdwa v97, v38, s17 dst_sel:DWORD dst_unused:UNUSED_PAD src0_sel:WORD_1 src1_sel:DWORD
	v_add_f16_e32 v93, v103, v93
	v_fma_f16 v103, v41, s23, v104
	v_add_f16_sdwa v92, v78, v92 dst_sel:DWORD dst_unused:UNUSED_PAD src0_sel:WORD_1 src1_sel:DWORD
	v_fma_f16 v98, v82, s15, v97
	v_add_f16_e32 v95, v103, v95
	v_mul_f16_sdwa v103, v41, s1 dst_sel:DWORD dst_unused:UNUSED_PAD src0_sel:WORD_1 src1_sel:DWORD
	v_add_f16_e32 v98, v78, v98
	v_mul_f16_sdwa v99, v82, s15 dst_sel:DWORD dst_unused:UNUSED_PAD src0_sel:WORD_1 src1_sel:DWORD
	v_fma_f16 v97, v82, s15, -v97
	v_add_f16_e32 v92, v105, v92
	v_fma_f16 v105, v41, s17, v104
	v_fma_f16 v104, v101, s4, v103
	;; [unrolled: 1-line block ×3, first 2 shown]
	v_add_f16_e32 v97, v78, v97
	v_fma_f16 v99, v38, s17, v99
	v_add_f16_e32 v98, v104, v98
	v_mul_f16_sdwa v104, v101, s4 dst_sel:DWORD dst_unused:UNUSED_PAD src0_sel:WORD_1 src1_sel:DWORD
	v_fma_f16 v103, v101, s4, -v103
	v_add_f16_sdwa v99, v78, v99 dst_sel:DWORD dst_unused:UNUSED_PAD src0_sel:WORD_1 src1_sel:DWORD
	v_add_f16_e32 v97, v103, v97
	v_fma_f16 v103, v41, s1, v104
	v_add_f16_e32 v99, v103, v99
	v_pk_add_f16 v103, v40, v43
	v_pk_add_f16 v40, v43, v40 neg_lo:[0,1] neg_hi:[0,1]
	v_add_f16_sdwa v96, v78, v96 dst_sel:DWORD dst_unused:UNUSED_PAD src0_sel:WORD_1 src1_sel:DWORD
	v_pk_mul_f16 v43, v40, s25 op_sel_hi:[1,0]
	v_add_f16_sdwa v100, v78, v100 dst_sel:DWORD dst_unused:UNUSED_PAD src0_sel:WORD_1 src1_sel:DWORD
	v_add_f16_e32 v96, v105, v96
	v_fma_f16 v105, v41, s25, v104
	v_pk_fma_f16 v104, v103, s4, v43 op_sel:[0,0,1] op_sel_hi:[1,0,0]
	v_pk_fma_f16 v43, v103, s4, v43 op_sel:[0,0,1] op_sel_hi:[1,0,0] neg_lo:[0,0,1] neg_hi:[0,0,1]
	v_add_f16_e32 v100, v105, v100
	v_bfi_b32 v105, s12, v104, v43
	v_pk_add_f16 v84, v105, v84
	v_mul_f16_sdwa v105, v40, s18 dst_sel:DWORD dst_unused:UNUSED_PAD src0_sel:WORD_1 src1_sel:DWORD
	v_fma_f16 v106, v103, s16, v105
	v_add_f16_e32 v86, v106, v86
	v_mul_f16_sdwa v106, v103, s16 dst_sel:DWORD dst_unused:UNUSED_PAD src0_sel:WORD_1 src1_sel:DWORD
	v_fma_f16 v105, v103, s16, -v105
	v_add_f16_e32 v85, v105, v85
	v_fma_f16 v105, v40, s18, v106
	v_add_f16_e32 v87, v105, v87
	v_mul_f16_sdwa v105, v40, s24 dst_sel:DWORD dst_unused:UNUSED_PAD src0_sel:WORD_1 src1_sel:DWORD
	v_fma_f16 v107, v40, s26, v106
	v_fma_f16 v106, v103, s14, v105
	v_add_f16_e32 v90, v106, v90
	v_mul_f16_sdwa v106, v103, s14 dst_sel:DWORD dst_unused:UNUSED_PAD src0_sel:WORD_1 src1_sel:DWORD
	v_fma_f16 v105, v103, s14, -v105
	v_add_f16_e32 v89, v105, v89
	v_fma_f16 v105, v40, s24, v106
	v_add_f16_e32 v91, v105, v91
	v_mul_f16_sdwa v105, v40, s21 dst_sel:DWORD dst_unused:UNUSED_PAD src0_sel:WORD_1 src1_sel:DWORD
	v_add_f16_e32 v88, v107, v88
	v_fma_f16 v107, v40, s0, v106
	v_fma_f16 v106, v103, s13, v105
	v_add_f16_e32 v94, v106, v94
	v_mul_f16_sdwa v106, v103, s13 dst_sel:DWORD dst_unused:UNUSED_PAD src0_sel:WORD_1 src1_sel:DWORD
	v_fma_f16 v105, v103, s13, -v105
	v_add_f16_e32 v93, v105, v93
	v_fma_f16 v105, v40, s21, v106
	v_add_f16_e32 v95, v105, v95
	v_mul_f16_sdwa v105, v40, s19 dst_sel:DWORD dst_unused:UNUSED_PAD src0_sel:WORD_1 src1_sel:DWORD
	v_add_f16_e32 v92, v107, v92
	v_fma_f16 v107, v40, s22, v106
	v_fma_f16 v106, v103, s5, v105
	v_add_f16_e32 v98, v106, v98
	v_mul_f16_sdwa v106, v103, s5 dst_sel:DWORD dst_unused:UNUSED_PAD src0_sel:WORD_1 src1_sel:DWORD
	v_fma_f16 v105, v103, s5, -v105
	v_add_f16_e32 v97, v105, v97
	v_fma_f16 v105, v40, s19, v106
	v_add_f16_e32 v99, v105, v99
	v_pk_add_f16 v105, v81, v44
	v_pk_add_f16 v44, v44, v81 neg_lo:[0,1] neg_hi:[0,1]
	v_pk_mul_f16 v81, v44, s0 op_sel_hi:[1,0]
	v_add_f16_e32 v96, v107, v96
	v_fma_f16 v107, v40, s20, v106
	v_pk_fma_f16 v106, v105, s14, v81 op_sel:[0,0,1] op_sel_hi:[1,0,0]
	v_pk_fma_f16 v81, v105, s14, v81 op_sel:[0,0,1] op_sel_hi:[1,0,0] neg_lo:[0,0,1] neg_hi:[0,0,1]
	v_add_f16_e32 v100, v107, v100
	v_bfi_b32 v107, s12, v106, v81
	v_pk_add_f16 v84, v107, v84
	v_mul_f16_sdwa v107, v44, s23 dst_sel:DWORD dst_unused:UNUSED_PAD src0_sel:WORD_1 src1_sel:DWORD
	v_fma_f16 v108, v105, s15, v107
	v_add_f16_e32 v86, v108, v86
	v_mul_f16_sdwa v108, v105, s15 dst_sel:DWORD dst_unused:UNUSED_PAD src0_sel:WORD_1 src1_sel:DWORD
	v_fma_f16 v107, v105, s15, -v107
	v_add_f16_e32 v85, v107, v85
	v_fma_f16 v107, v44, s23, v108
	v_add_f16_e32 v87, v107, v87
	v_mul_f16_sdwa v107, v44, s21 dst_sel:DWORD dst_unused:UNUSED_PAD src0_sel:WORD_1 src1_sel:DWORD
	v_fma_f16 v109, v44, s17, v108
	v_fma_f16 v108, v105, s13, v107
	v_add_f16_e32 v90, v108, v90
	v_mul_f16_sdwa v108, v105, s13 dst_sel:DWORD dst_unused:UNUSED_PAD src0_sel:WORD_1 src1_sel:DWORD
	v_fma_f16 v107, v105, s13, -v107
	v_add_f16_e32 v89, v107, v89
	v_fma_f16 v107, v44, s21, v108
	v_add_f16_e32 v91, v107, v91
	v_mul_f16_sdwa v107, v44, s25 dst_sel:DWORD dst_unused:UNUSED_PAD src0_sel:WORD_1 src1_sel:DWORD
	v_add_f16_e32 v88, v109, v88
	v_fma_f16 v109, v44, s22, v108
	v_fma_f16 v108, v105, s4, v107
	v_add_f16_e32 v94, v108, v94
	v_mul_f16_sdwa v108, v105, s4 dst_sel:DWORD dst_unused:UNUSED_PAD src0_sel:WORD_1 src1_sel:DWORD
	v_fma_f16 v107, v105, s4, -v107
	v_add_f16_e32 v93, v107, v93
	v_fma_f16 v107, v44, s25, v108
	v_add_f16_e32 v95, v107, v95
	v_mul_f16_sdwa v107, v44, s26 dst_sel:DWORD dst_unused:UNUSED_PAD src0_sel:WORD_1 src1_sel:DWORD
	v_add_f16_e32 v92, v109, v92
	v_fma_f16 v109, v44, s1, v108
	v_fma_f16 v108, v105, s16, v107
	v_add_f16_e32 v98, v108, v98
	v_mul_f16_sdwa v108, v105, s16 dst_sel:DWORD dst_unused:UNUSED_PAD src0_sel:WORD_1 src1_sel:DWORD
	v_fma_f16 v107, v105, s16, -v107
	v_add_f16_e32 v97, v107, v97
	v_fma_f16 v107, v44, s26, v108
	v_add_f16_e32 v99, v107, v99
	v_pk_add_f16 v107, v80, v45
	v_pk_add_f16 v45, v45, v80 neg_lo:[0,1] neg_hi:[0,1]
	v_pk_mul_f16 v80, v45, s17 op_sel_hi:[1,0]
	;; [unrolled: 47-line block ×3, first 2 shown]
	v_add_f16_e32 v96, v111, v96
	v_fma_f16 v111, v45, s22, v110
	v_pk_fma_f16 v110, v109, s16, v37 op_sel:[0,0,1] op_sel_hi:[1,0,0]
	v_pk_fma_f16 v37, v109, s16, v37 op_sel:[0,0,1] op_sel_hi:[1,0,0] neg_lo:[0,0,1] neg_hi:[0,0,1]
	v_add_f16_e32 v100, v111, v100
	v_bfi_b32 v111, s12, v110, v37
	v_pk_add_f16 v84, v111, v84
	v_mul_f16_sdwa v111, v36, s21 dst_sel:DWORD dst_unused:UNUSED_PAD src0_sel:WORD_1 src1_sel:DWORD
	v_fma_f16 v112, v109, s13, v111
	v_add_f16_e32 v86, v112, v86
	v_mul_f16_sdwa v112, v109, s13 dst_sel:DWORD dst_unused:UNUSED_PAD src0_sel:WORD_1 src1_sel:DWORD
	v_fma_f16 v111, v109, s13, -v111
	v_add_f16_e32 v85, v111, v85
	v_fma_f16 v111, v36, s21, v112
	v_add_f16_e32 v87, v111, v87
	v_mul_f16_sdwa v111, v36, s17 dst_sel:DWORD dst_unused:UNUSED_PAD src0_sel:WORD_1 src1_sel:DWORD
	v_fma_f16 v113, v36, s22, v112
	v_fma_f16 v112, v109, s15, v111
	v_add_f16_e32 v90, v112, v90
	v_mul_f16_sdwa v112, v109, s15 dst_sel:DWORD dst_unused:UNUSED_PAD src0_sel:WORD_1 src1_sel:DWORD
	v_fma_f16 v111, v109, s15, -v111
	v_add_f16_e32 v89, v111, v89
	v_fma_f16 v111, v36, s17, v112
	v_add_f16_e32 v91, v111, v91
	v_mul_f16_sdwa v111, v36, s20 dst_sel:DWORD dst_unused:UNUSED_PAD src0_sel:WORD_1 src1_sel:DWORD
	v_add_f16_e32 v88, v113, v88
	v_fma_f16 v113, v36, s23, v112
	v_fma_f16 v112, v109, s5, v111
	v_add_f16_e32 v94, v112, v94
	v_mul_f16_sdwa v112, v109, s5 dst_sel:DWORD dst_unused:UNUSED_PAD src0_sel:WORD_1 src1_sel:DWORD
	v_fma_f16 v111, v109, s5, -v111
	v_add_f16_e32 v93, v111, v93
	v_fma_f16 v111, v36, s20, v112
	v_add_f16_e32 v95, v111, v95
	v_mul_f16_sdwa v111, v36, s0 dst_sel:DWORD dst_unused:UNUSED_PAD src0_sel:WORD_1 src1_sel:DWORD
	v_add_f16_e32 v92, v113, v92
	v_fma_f16 v113, v36, s19, v112
	v_fma_f16 v112, v109, s14, v111
	v_add_f16_e32 v98, v112, v98
	v_mul_f16_sdwa v112, v109, s14 dst_sel:DWORD dst_unused:UNUSED_PAD src0_sel:WORD_1 src1_sel:DWORD
	v_add_f16_e32 v96, v113, v96
	v_fma_f16 v113, v36, s24, v112
	v_add_f16_e32 v100, v113, v100
	s_barrier
	ds_write2_b32 v35, v46, v84 offset1:1
	v_pack_b32_f16 v46, v90, v92
	v_pack_b32_f16 v84, v86, v88
	ds_write2_b32 v35, v84, v46 offset0:2 offset1:3
	v_pack_b32_f16 v46, v98, v100
	v_pack_b32_f16 v84, v94, v96
	ds_write2_b32 v35, v84, v46 offset0:4 offset1:5
	v_pk_mul_f16 v46, v82, s16 op_sel_hi:[1,0]
	v_pk_fma_f16 v82, v38, s18, v46 op_sel:[0,0,1] op_sel_hi:[1,0,0]
	v_pk_fma_f16 v38, v38, s18, v46 op_sel:[0,0,1] op_sel_hi:[1,0,0] neg_lo:[1,0,0] neg_hi:[1,0,0]
	v_alignbit_b32 v46, s0, v78, 16
	v_alignbit_b32 v84, s0, v82, 16
	v_pk_add_f16 v46, v46, v82
	v_pk_mul_f16 v82, v101, s13 op_sel_hi:[1,0]
	v_pk_add_f16 v38, v78, v38 op_sel:[1,0] op_sel_hi:[0,1]
	v_pk_fma_f16 v86, v41, s21, v82 op_sel:[0,0,1] op_sel_hi:[1,0,0]
	v_pk_fma_f16 v41, v41, s21, v82 op_sel:[0,0,1] op_sel_hi:[1,0,0] neg_lo:[1,0,0] neg_hi:[1,0,0]
	v_pk_add_f16 v38, v41, v38
	v_pk_add_f16 v41, v86, v46
	v_pk_mul_f16 v46, v103, s15 op_sel_hi:[1,0]
	v_pk_fma_f16 v82, v40, s17, v46 op_sel:[0,0,1] op_sel_hi:[1,0,0]
	v_pk_fma_f16 v40, v40, s17, v46 op_sel:[0,0,1] op_sel_hi:[1,0,0] neg_lo:[1,0,0] neg_hi:[1,0,0]
	v_pk_add_f16 v38, v40, v38
	v_pk_add_f16 v40, v82, v41
	v_pk_mul_f16 v41, v105, s5 op_sel_hi:[1,0]
	v_pk_fma_f16 v46, v44, s20, v41 op_sel:[0,0,1] op_sel_hi:[1,0,0]
	v_pk_fma_f16 v41, v44, s20, v41 op_sel:[0,0,1] op_sel_hi:[1,0,0] neg_lo:[1,0,0] neg_hi:[1,0,0]
	v_pk_add_f16 v84, v78, v84
	v_alignbit_b32 v88, s0, v86, 16
	v_pk_add_f16 v38, v41, v38
	v_pk_mul_f16 v41, v107, s14 op_sel_hi:[1,0]
	v_pk_add_f16 v84, v88, v84
	v_alignbit_b32 v86, s0, v82, 16
	v_pk_fma_f16 v44, v45, s0, v41 op_sel:[0,0,1] op_sel_hi:[1,0,0]
	v_pk_fma_f16 v41, v45, s0, v41 op_sel:[0,0,1] op_sel_hi:[1,0,0] neg_lo:[1,0,0] neg_hi:[1,0,0]
	v_pk_add_f16 v84, v86, v84
	v_alignbit_b32 v82, s0, v46, 16
	v_pk_add_f16 v40, v46, v40
	v_pk_add_f16 v38, v41, v38
	v_pk_mul_f16 v41, v109, s4 op_sel_hi:[1,0]
	v_fma_f16 v111, v109, s14, -v111
	v_pk_add_f16 v82, v82, v84
	v_alignbit_b32 v46, s0, v44, 16
	v_pk_add_f16 v40, v44, v40
	v_pk_fma_f16 v44, v36, s1, v41 op_sel:[0,0,1] op_sel_hi:[1,0,0]
	v_add_f16_e32 v97, v111, v97
	v_fma_f16 v111, v36, s0, v112
	v_pk_add_f16 v46, v46, v82
	v_alignbit_b32 v45, s0, v44, 16
	v_pk_fma_f16 v36, v36, s1, v41 op_sel:[0,0,1] op_sel_hi:[1,0,0] neg_lo:[1,0,0] neg_hi:[1,0,0]
	v_pk_add_f16 v45, v45, v46
	v_pk_add_f16 v36, v36, v38
	;; [unrolled: 1-line block ×3, first 2 shown]
	v_add_f16_e32 v99, v111, v99
	v_alignbit_b32 v38, v38, v36, 16
	v_pack_b32_f16 v36, v45, v36
	ds_write2_b32 v35, v36, v38 offset0:6 offset1:7
	v_pack_b32_f16 v36, v93, v95
	v_pack_b32_f16 v38, v97, v99
	ds_write2_b32 v35, v38, v36 offset0:8 offset1:9
	v_pack_b32_f16 v36, v85, v87
	v_pack_b32_f16 v38, v89, v91
	ds_write2_b32 v35, v38, v36 offset0:10 offset1:11
	v_bfi_b32 v36, s12, v79, v83
	v_pk_add_f16 v36, v78, v36
	v_bfi_b32 v38, s12, v42, v102
	v_pk_add_f16 v36, v38, v36
	v_bfi_b32 v38, s12, v43, v104
	v_pk_add_f16 v36, v38, v36
	v_bfi_b32 v38, s12, v81, v106
	v_pk_add_f16 v36, v38, v36
	v_bfi_b32 v38, s12, v80, v108
	v_pk_add_f16 v36, v38, v36
	v_bfi_b32 v37, s12, v37, v110
	v_pk_add_f16 v78, v37, v36
	ds_write_b32 v35, v78 offset:48
	s_waitcnt lgkmcnt(0)
	s_barrier
	ds_read2_b32 v[37:38], v47 offset1:156
	ds_read2_b32 v[35:36], v39 offset0:56 offset1:251
	v_add_u32_e32 v39, 0xf00, v47
	v_add_u32_e32 v41, 0xa00, v47
	ds_read2_b32 v[45:46], v39 offset0:54 offset1:210
	v_add_u32_e32 v39, 0x1400, v47
	ds_read2_b32 v[43:44], v41 offset0:23 offset1:179
	;; [unrolled: 2-line block ×3, first 2 shown]
	ds_read2_b32 v[41:42], v41 offset0:13 offset1:169
	v_lshrrev_b32_e32 v79, 16, v78
	s_and_saveexec_b64 s[0:1], s[2:3]
	s_cbranch_execz .LBB0_11
; %bb.10:
	ds_read_b32 v78, v47 offset:1872
	ds_read_b32 v74, v47 offset:3900
	;; [unrolled: 1-line block ×4, first 2 shown]
	s_waitcnt lgkmcnt(3)
	v_lshrrev_b32_e32 v79, 16, v78
	s_waitcnt lgkmcnt(2)
	v_lshrrev_b32_e32 v77, 16, v74
	;; [unrolled: 2-line block ×4, first 2 shown]
.LBB0_11:
	s_or_b64 exec, exec, s[0:1]
	s_waitcnt lgkmcnt(4)
	v_lshrrev_b32_e32 v81, 16, v36
	v_mul_f16_sdwa v92, v21, v81 dst_sel:DWORD dst_unused:UNUSED_PAD src0_sel:WORD_1 src1_sel:DWORD
	s_waitcnt lgkmcnt(3)
	v_lshrrev_b32_e32 v82, 16, v45
	v_fma_f16 v92, v21, v36, v92
	v_mul_f16_sdwa v36, v21, v36 dst_sel:DWORD dst_unused:UNUSED_PAD src0_sel:WORD_1 src1_sel:DWORD
	v_fma_f16 v21, v21, v81, -v36
	v_mul_f16_sdwa v36, v22, v82 dst_sel:DWORD dst_unused:UNUSED_PAD src0_sel:WORD_1 src1_sel:DWORD
	s_waitcnt lgkmcnt(1)
	v_lshrrev_b32_e32 v83, 16, v40
	v_fma_f16 v36, v22, v45, v36
	v_mul_f16_sdwa v45, v22, v45 dst_sel:DWORD dst_unused:UNUSED_PAD src0_sel:WORD_1 src1_sel:DWORD
	v_fma_f16 v22, v22, v82, -v45
	v_mul_f16_sdwa v45, v23, v83 dst_sel:DWORD dst_unused:UNUSED_PAD src0_sel:WORD_1 src1_sel:DWORD
	v_lshrrev_b32_e32 v85, 16, v43
	v_fma_f16 v45, v23, v40, v45
	v_mul_f16_sdwa v40, v23, v40 dst_sel:DWORD dst_unused:UNUSED_PAD src0_sel:WORD_1 src1_sel:DWORD
	v_fma_f16 v23, v23, v83, -v40
	v_mul_f16_sdwa v40, v18, v85 dst_sel:DWORD dst_unused:UNUSED_PAD src0_sel:WORD_1 src1_sel:DWORD
	;; [unrolled: 5-line block ×3, first 2 shown]
	s_waitcnt lgkmcnt(0)
	v_lshrrev_b32_e32 v87, 16, v41
	v_fma_f16 v43, v19, v46, v43
	v_mul_f16_sdwa v46, v19, v46 dst_sel:DWORD dst_unused:UNUSED_PAD src0_sel:WORD_1 src1_sel:DWORD
	v_fma_f16 v19, v19, v86, -v46
	v_mul_f16_sdwa v46, v20, v87 dst_sel:DWORD dst_unused:UNUSED_PAD src0_sel:WORD_1 src1_sel:DWORD
	v_lshrrev_b32_e32 v89, 16, v44
	v_fma_f16 v46, v20, v41, v46
	v_mul_f16_sdwa v41, v20, v41 dst_sel:DWORD dst_unused:UNUSED_PAD src0_sel:WORD_1 src1_sel:DWORD
	v_fma_f16 v20, v20, v87, -v41
	v_mul_f16_sdwa v41, v12, v89 dst_sel:DWORD dst_unused:UNUSED_PAD src0_sel:WORD_1 src1_sel:DWORD
	;; [unrolled: 5-line block ×4, first 2 shown]
	v_fma_f16 v39, v14, v42, v39
	v_mul_f16_sdwa v42, v14, v42 dst_sel:DWORD dst_unused:UNUSED_PAD src0_sel:WORD_1 src1_sel:DWORD
	v_fma_f16 v14, v14, v91, -v42
	v_mul_f16_sdwa v42, v15, v77 dst_sel:DWORD dst_unused:UNUSED_PAD src0_sel:WORD_1 src1_sel:DWORD
	v_fma_f16 v42, v15, v74, v42
	v_mul_f16_sdwa v74, v15, v74 dst_sel:DWORD dst_unused:UNUSED_PAD src0_sel:WORD_1 src1_sel:DWORD
	v_fma_f16 v15, v15, v77, -v74
	v_mul_f16_sdwa v74, v16, v76 dst_sel:DWORD dst_unused:UNUSED_PAD src0_sel:WORD_1 src1_sel:DWORD
	v_fma_f16 v74, v16, v75, v74
	v_mul_f16_sdwa v75, v16, v75 dst_sel:DWORD dst_unused:UNUSED_PAD src0_sel:WORD_1 src1_sel:DWORD
	v_fma_f16 v16, v16, v76, -v75
	v_mul_f16_sdwa v75, v17, v68 dst_sel:DWORD dst_unused:UNUSED_PAD src0_sel:WORD_1 src1_sel:DWORD
	v_fma_f16 v75, v17, v67, v75
	v_mul_f16_sdwa v67, v17, v67 dst_sel:DWORD dst_unused:UNUSED_PAD src0_sel:WORD_1 src1_sel:DWORD
	v_sub_f16_e32 v36, v37, v36
	v_sub_f16_e32 v45, v92, v45
	;; [unrolled: 1-line block ×3, first 2 shown]
	v_lshrrev_b32_e32 v80, 16, v37
	v_lshrrev_b32_e32 v84, 16, v38
	v_fma_f16 v17, v17, v68, -v67
	v_fma_f16 v37, v37, 2.0, -v36
	v_fma_f16 v68, v92, 2.0, -v45
	;; [unrolled: 1-line block ×3, first 2 shown]
	v_add_f16_e32 v23, v36, v23
	v_sub_f16_e32 v68, v37, v68
	v_fma_f16 v77, v36, 2.0, -v23
	v_sub_f16_e32 v36, v38, v43
	v_sub_f16_e32 v19, v84, v19
	;; [unrolled: 1-line block ×3, first 2 shown]
	v_fma_f16 v76, v37, 2.0, -v68
	v_fma_f16 v37, v38, 2.0, -v36
	;; [unrolled: 1-line block ×4, first 2 shown]
	v_lshrrev_b32_e32 v88, 16, v35
	v_sub_f16_e32 v43, v40, v46
	v_sub_f16_e32 v18, v38, v18
	v_fma_f16 v40, v40, 2.0, -v43
	v_fma_f16 v81, v38, 2.0, -v18
	v_add_f16_e32 v20, v36, v20
	v_sub_f16_e32 v13, v88, v13
	v_sub_f16_e32 v38, v41, v39
	;; [unrolled: 1-line block ×4, first 2 shown]
	v_fma_f16 v82, v36, 2.0, -v20
	v_sub_f16_e32 v36, v35, v44
	v_sub_f16_e32 v85, v13, v38
	;; [unrolled: 1-line block ×4, first 2 shown]
	v_fma_f16 v67, v80, 2.0, -v22
	v_fma_f16 v80, v37, 2.0, -v46
	;; [unrolled: 1-line block ×4, first 2 shown]
	v_sub_f16_e32 v14, v12, v14
	v_fma_f16 v39, v41, 2.0, -v38
	v_fma_f16 v87, v13, 2.0, -v85
	;; [unrolled: 1-line block ×4, first 2 shown]
	v_sub_f16_e32 v21, v67, v21
	v_sub_f16_e32 v45, v22, v45
	v_fma_f16 v12, v12, 2.0, -v14
	v_sub_f16_e32 v41, v35, v39
	v_add_f16_e32 v14, v36, v14
	v_sub_f16_e32 v40, v42, v75
	v_sub_f16_e32 v39, v13, v15
	v_fma_f16 v67, v67, 2.0, -v21
	v_fma_f16 v22, v22, 2.0, -v45
	v_fma_f16 v86, v36, 2.0, -v14
	v_fma_f16 v36, v13, 2.0, -v39
	v_sub_f16_e32 v13, v16, v40
	v_sub_f16_e32 v43, v19, v43
	v_fma_f16 v83, v35, 2.0, -v41
	v_fma_f16 v35, v42, 2.0, -v40
	;; [unrolled: 1-line block ×3, first 2 shown]
	v_pack_b32_f16 v15, v76, v67
	v_pack_b32_f16 v16, v77, v22
	v_fma_f16 v19, v19, 2.0, -v43
	v_sub_f16_e32 v38, v78, v74
	s_barrier
	ds_write2_b32 v64, v15, v16 offset1:13
	v_pack_b32_f16 v15, v68, v21
	v_pack_b32_f16 v16, v23, v45
	v_sub_f16_e32 v44, v37, v12
	v_fma_f16 v12, v78, 2.0, -v38
	ds_write2_b32 v64, v15, v16 offset0:26 offset1:39
	v_pack_b32_f16 v15, v80, v81
	v_pack_b32_f16 v16, v82, v19
	v_fma_f16 v84, v37, 2.0, -v44
	v_sub_f16_e32 v37, v12, v35
	ds_write2_b32 v65, v15, v16 offset1:13
	v_pack_b32_f16 v15, v46, v18
	v_pack_b32_f16 v16, v20, v43
	v_fma_f16 v35, v12, 2.0, -v37
	v_add_f16_e32 v12, v38, v17
	ds_write2_b32 v65, v15, v16 offset0:26 offset1:39
	v_pack_b32_f16 v15, v83, v84
	v_pack_b32_f16 v16, v86, v87
	v_fma_f16 v38, v38, 2.0, -v12
	ds_write2_b32 v66, v15, v16 offset1:13
	v_pack_b32_f16 v15, v41, v44
	v_pack_b32_f16 v14, v14, v85
	ds_write2_b32 v66, v15, v14 offset0:26 offset1:39
	s_and_saveexec_b64 s[0:1], s[2:3]
	s_cbranch_execz .LBB0_13
; %bb.12:
	v_mad_legacy_u16 v14, v62, 52, v63
	s_mov_b32 s2, 0x5040100
	v_lshlrev_b32_e32 v14, 2, v14
	v_perm_b32 v15, v36, v35, s2
	v_perm_b32 v16, v40, v38, s2
	ds_write2_b32 v14, v15, v16 offset1:13
	v_perm_b32 v15, v39, v37, s2
	v_perm_b32 v12, v13, v12, s2
	ds_write2_b32 v14, v15, v12 offset0:26 offset1:39
.LBB0_13:
	s_or_b64 exec, exec, s[0:1]
	v_add_u32_e32 v12, 0xa00, v47
	s_waitcnt lgkmcnt(0)
	s_barrier
	ds_read2_b32 v[20:21], v12 offset0:36 offset1:192
	v_add_u32_e32 v12, 0x1400, v47
	ds_read2_b32 v[22:23], v12 offset0:72 offset1:228
	v_add_u32_e32 v12, 0x400, v47
	v_add_u32_e32 v16, 0xe00, v47
	;; [unrolled: 1-line block ×3, first 2 shown]
	ds_read2_b32 v[14:15], v47 offset1:156
	ds_read2_b32 v[12:13], v12 offset0:56 offset1:212
	ds_read2_b32 v[16:17], v16 offset0:92 offset1:248
	ds_read2_b32 v[18:19], v18 offset1:156
	s_and_saveexec_b64 s[0:1], vcc
	s_cbranch_execz .LBB0_15
; %bb.14:
	ds_read_b32 v35, v47 offset:2496
	ds_read_b32 v38, v47 offset:5200
	;; [unrolled: 1-line block ×3, first 2 shown]
	s_waitcnt lgkmcnt(2)
	v_lshrrev_b32_e32 v36, 16, v35
	s_waitcnt lgkmcnt(1)
	v_lshrrev_b32_e32 v40, 16, v38
	;; [unrolled: 2-line block ×3, first 2 shown]
.LBB0_15:
	s_or_b64 exec, exec, s[0:1]
	s_waitcnt lgkmcnt(5)
	v_lshrrev_b32_e32 v42, 16, v20
	v_mul_f16_sdwa v68, v29, v42 dst_sel:DWORD dst_unused:UNUSED_PAD src0_sel:WORD_1 src1_sel:DWORD
	s_waitcnt lgkmcnt(4)
	v_lshrrev_b32_e32 v43, 16, v22
	v_fma_f16 v68, v29, v20, v68
	v_mul_f16_sdwa v20, v29, v20 dst_sel:DWORD dst_unused:UNUSED_PAD src0_sel:WORD_1 src1_sel:DWORD
	v_fma_f16 v20, v29, v42, -v20
	v_mul_f16_sdwa v29, v30, v43 dst_sel:DWORD dst_unused:UNUSED_PAD src0_sel:WORD_1 src1_sel:DWORD
	v_lshrrev_b32_e32 v45, 16, v21
	v_fma_f16 v29, v30, v22, v29
	v_mul_f16_sdwa v22, v30, v22 dst_sel:DWORD dst_unused:UNUSED_PAD src0_sel:WORD_1 src1_sel:DWORD
	v_fma_f16 v22, v30, v43, -v22
	v_mul_f16_sdwa v30, v27, v45 dst_sel:DWORD dst_unused:UNUSED_PAD src0_sel:WORD_1 src1_sel:DWORD
	;; [unrolled: 5-line block ×3, first 2 shown]
	s_waitcnt lgkmcnt(1)
	v_lshrrev_b32_e32 v63, 16, v16
	v_fma_f16 v27, v28, v23, v27
	v_mul_f16_sdwa v23, v28, v23 dst_sel:DWORD dst_unused:UNUSED_PAD src0_sel:WORD_1 src1_sel:DWORD
	v_fma_f16 v23, v28, v46, -v23
	v_mul_f16_sdwa v28, v33, v63 dst_sel:DWORD dst_unused:UNUSED_PAD src0_sel:WORD_1 src1_sel:DWORD
	s_waitcnt lgkmcnt(0)
	v_lshrrev_b32_e32 v64, 16, v18
	v_fma_f16 v28, v33, v16, v28
	v_mul_f16_sdwa v16, v33, v16 dst_sel:DWORD dst_unused:UNUSED_PAD src0_sel:WORD_1 src1_sel:DWORD
	v_fma_f16 v16, v33, v63, -v16
	v_mul_f16_sdwa v33, v34, v64 dst_sel:DWORD dst_unused:UNUSED_PAD src0_sel:WORD_1 src1_sel:DWORD
	v_lshrrev_b32_e32 v66, 16, v17
	v_fma_f16 v33, v34, v18, v33
	v_mul_f16_sdwa v18, v34, v18 dst_sel:DWORD dst_unused:UNUSED_PAD src0_sel:WORD_1 src1_sel:DWORD
	v_fma_f16 v18, v34, v64, -v18
	v_mul_f16_sdwa v34, v31, v66 dst_sel:DWORD dst_unused:UNUSED_PAD src0_sel:WORD_1 src1_sel:DWORD
	;; [unrolled: 5-line block ×3, first 2 shown]
	v_fma_f16 v31, v32, v19, v31
	v_mul_f16_sdwa v19, v32, v19 dst_sel:DWORD dst_unused:UNUSED_PAD src0_sel:WORD_1 src1_sel:DWORD
	v_add_f16_e32 v42, v68, v29
	v_lshrrev_b32_e32 v41, 16, v14
	v_fma_f16 v19, v32, v67, -v19
	v_add_f16_e32 v32, v14, v68
	v_fma_f16 v14, v42, -0.5, v14
	v_sub_f16_e32 v42, v20, v22
	s_mov_b32 s2, 0xbaee
	s_movk_i32 s3, 0x3aee
	v_fma_f16 v43, v42, s2, v14
	v_fma_f16 v14, v42, s3, v14
	v_add_f16_e32 v42, v41, v20
	v_add_f16_e32 v20, v20, v22
	;; [unrolled: 1-line block ×3, first 2 shown]
	v_fma_f16 v20, v20, -0.5, v41
	v_sub_f16_e32 v22, v68, v29
	v_add_f16_e32 v41, v30, v27
	v_lshrrev_b32_e32 v44, 16, v15
	v_add_f16_e32 v32, v32, v29
	v_fma_f16 v29, v22, s3, v20
	v_fma_f16 v20, v22, s2, v20
	v_add_f16_e32 v22, v15, v30
	v_fma_f16 v15, v41, -0.5, v15
	v_sub_f16_e32 v41, v21, v23
	v_fma_f16 v45, v41, s2, v15
	v_fma_f16 v15, v41, s3, v15
	v_add_f16_e32 v41, v44, v21
	v_add_f16_e32 v21, v21, v23
	;; [unrolled: 1-line block ×3, first 2 shown]
	v_fma_f16 v21, v21, -0.5, v44
	v_sub_f16_e32 v23, v30, v27
	v_add_f16_e32 v30, v28, v33
	v_lshrrev_b32_e32 v62, 16, v12
	v_add_f16_e32 v22, v22, v27
	v_fma_f16 v27, v23, s3, v21
	v_fma_f16 v21, v23, s2, v21
	v_add_f16_e32 v23, v12, v28
	v_fma_f16 v12, v30, -0.5, v12
	v_sub_f16_e32 v30, v16, v18
	v_fma_f16 v44, v30, s2, v12
	v_fma_f16 v12, v30, s3, v12
	v_add_f16_e32 v30, v62, v16
	v_add_f16_e32 v16, v16, v18
	;; [unrolled: 1-line block ×4, first 2 shown]
	v_fma_f16 v16, v16, -0.5, v62
	v_sub_f16_e32 v18, v28, v33
	v_add_f16_e32 v33, v34, v31
	v_lshrrev_b32_e32 v65, 16, v13
	v_fma_f16 v28, v18, s3, v16
	v_fma_f16 v16, v18, s2, v16
	v_add_f16_e32 v18, v13, v34
	v_fma_f16 v13, v33, -0.5, v13
	v_sub_f16_e32 v33, v17, v19
	v_fma_f16 v46, v33, s2, v13
	v_fma_f16 v13, v33, s3, v13
	v_add_f16_e32 v33, v65, v17
	v_add_f16_e32 v17, v17, v19
	;; [unrolled: 1-line block ×3, first 2 shown]
	v_fma_f16 v17, v17, -0.5, v65
	v_sub_f16_e32 v19, v34, v31
	v_add_f16_e32 v18, v18, v31
	v_fma_f16 v31, v19, s3, v17
	v_fma_f16 v17, v19, s2, v17
	v_pack_b32_f16 v19, v32, v42
	v_pack_b32_f16 v29, v43, v29
	;; [unrolled: 1-line block ×3, first 2 shown]
	s_barrier
	ds_write2_b32 v70, v19, v29 offset1:52
	ds_write_b32 v70, v14 offset:416
	v_pack_b32_f16 v14, v22, v41
	v_pack_b32_f16 v19, v45, v27
	ds_write2_b32 v71, v14, v19 offset1:52
	v_pack_b32_f16 v14, v15, v21
	ds_write_b32 v71, v14 offset:416
	v_pack_b32_f16 v14, v23, v30
	v_pack_b32_f16 v15, v44, v28
	;; [unrolled: 1-line block ×3, first 2 shown]
	ds_write2_b32 v72, v14, v15 offset1:52
	ds_write_b32 v72, v12 offset:416
	v_pack_b32_f16 v12, v18, v33
	v_pack_b32_f16 v14, v46, v31
	ds_write2_b32 v73, v12, v14 offset1:52
	v_pack_b32_f16 v12, v13, v17
	ds_write_b32 v73, v12 offset:416
	s_and_saveexec_b64 s[0:1], vcc
	s_cbranch_execz .LBB0_17
; %bb.16:
	v_mul_f16_sdwa v12, v25, v38 dst_sel:DWORD dst_unused:UNUSED_PAD src0_sel:WORD_1 src1_sel:DWORD
	v_mul_f16_sdwa v13, v26, v37 dst_sel:DWORD dst_unused:UNUSED_PAD src0_sel:WORD_1 src1_sel:DWORD
	;; [unrolled: 1-line block ×4, first 2 shown]
	v_fma_f16 v12, v25, v40, -v12
	v_fma_f16 v13, v26, v39, -v13
	v_fma_f16 v15, v25, v38, v15
	v_fma_f16 v16, v26, v37, v16
	v_add_f16_e32 v14, v13, v12
	v_add_f16_e32 v19, v16, v15
	v_sub_f16_e32 v20, v12, v13
	v_add_f16_e32 v12, v12, v36
	v_fma_f16 v14, v14, -0.5, v36
	v_sub_f16_e32 v17, v15, v16
	v_fma_f16 v19, v19, -0.5, v35
	v_add_f16_e32 v12, v13, v12
	v_add_f16_e32 v13, v35, v15
	v_fma_f16 v18, v17, s2, v14
	v_fma_f16 v14, v17, s3, v14
	;; [unrolled: 1-line block ×3, first 2 shown]
	v_add_f16_e32 v13, v16, v13
	v_fma_f16 v21, v20, s3, v19
	v_pack_b32_f16 v12, v13, v12
	v_pack_b32_f16 v13, v17, v14
	v_add_u32_e32 v14, 0x1c00, v69
	ds_write2_b32 v14, v12, v13 offset0:80 offset1:132
	v_pack_b32_f16 v12, v21, v18
	ds_write_b32 v69, v12 offset:7904
.LBB0_17:
	s_or_b64 exec, exec, s[0:1]
	s_waitcnt lgkmcnt(0)
	s_barrier
	ds_read2_b32 v[17:18], v47 offset1:156
	v_add_u32_e32 v16, 0x400, v47
	ds_read2_b32 v[19:20], v16 offset0:56 offset1:212
	v_add_u32_e32 v15, 0x900, v47
	ds_read2_b32 v[21:22], v15 offset0:48 offset1:204
	s_waitcnt lgkmcnt(2)
	v_lshrrev_b32_e32 v23, 16, v18
	v_mul_f16_sdwa v43, v0, v23 dst_sel:DWORD dst_unused:UNUSED_PAD src0_sel:WORD_1 src1_sel:DWORD
	s_waitcnt lgkmcnt(1)
	v_lshrrev_b32_e32 v31, 16, v19
	v_fma_f16 v43, v0, v18, v43
	v_mul_f16_sdwa v18, v0, v18 dst_sel:DWORD dst_unused:UNUSED_PAD src0_sel:WORD_1 src1_sel:DWORD
	v_fma_f16 v0, v0, v23, -v18
	v_mul_f16_sdwa v18, v1, v31 dst_sel:DWORD dst_unused:UNUSED_PAD src0_sel:WORD_1 src1_sel:DWORD
	v_add_u32_e32 v14, 0xe00, v47
	v_lshrrev_b32_e32 v32, 16, v20
	v_fma_f16 v18, v1, v19, v18
	v_mul_f16_sdwa v19, v1, v19 dst_sel:DWORD dst_unused:UNUSED_PAD src0_sel:WORD_1 src1_sel:DWORD
	ds_read2_b32 v[25:26], v14 offset0:40 offset1:196
	v_fma_f16 v1, v1, v31, -v19
	v_mul_f16_sdwa v19, v2, v32 dst_sel:DWORD dst_unused:UNUSED_PAD src0_sel:WORD_1 src1_sel:DWORD
	s_waitcnt lgkmcnt(1)
	v_lshrrev_b32_e32 v33, 16, v21
	v_add_u32_e32 v13, 0x1200, v47
	v_fma_f16 v19, v2, v20, v19
	v_mul_f16_sdwa v20, v2, v20 dst_sel:DWORD dst_unused:UNUSED_PAD src0_sel:WORD_1 src1_sel:DWORD
	ds_read2_b32 v[27:28], v13 offset0:96 offset1:252
	v_fma_f16 v2, v2, v32, -v20
	v_mul_f16_sdwa v20, v3, v33 dst_sel:DWORD dst_unused:UNUSED_PAD src0_sel:WORD_1 src1_sel:DWORD
	v_lshrrev_b32_e32 v34, 16, v22
	v_add_u32_e32 v12, 0x1800, v47
	v_fma_f16 v20, v3, v21, v20
	v_mul_f16_sdwa v21, v3, v21 dst_sel:DWORD dst_unused:UNUSED_PAD src0_sel:WORD_1 src1_sel:DWORD
	ds_read2_b32 v[29:30], v12 offset0:24 offset1:180
	v_fma_f16 v3, v3, v33, -v21
	v_mul_f16_sdwa v21, v4, v34 dst_sel:DWORD dst_unused:UNUSED_PAD src0_sel:WORD_1 src1_sel:DWORD
	s_waitcnt lgkmcnt(2)
	v_lshrrev_b32_e32 v35, 16, v25
	v_fma_f16 v21, v4, v22, v21
	v_mul_f16_sdwa v22, v4, v22 dst_sel:DWORD dst_unused:UNUSED_PAD src0_sel:WORD_1 src1_sel:DWORD
	v_lshrrev_b32_e32 v36, 16, v26
	ds_read_b32 v37, v47 offset:7488
	v_fma_f16 v4, v4, v34, -v22
	v_mul_f16_sdwa v22, v5, v35 dst_sel:DWORD dst_unused:UNUSED_PAD src0_sel:WORD_1 src1_sel:DWORD
	v_mul_f16_sdwa v23, v5, v25 dst_sel:DWORD dst_unused:UNUSED_PAD src0_sel:WORD_1 src1_sel:DWORD
	s_waitcnt lgkmcnt(2)
	v_lshrrev_b32_e32 v38, 16, v27
	v_fma_f16 v22, v5, v25, v22
	v_fma_f16 v5, v5, v35, -v23
	v_mul_f16_sdwa v23, v6, v36 dst_sel:DWORD dst_unused:UNUSED_PAD src0_sel:WORD_1 src1_sel:DWORD
	v_mul_f16_sdwa v25, v6, v26 dst_sel:DWORD dst_unused:UNUSED_PAD src0_sel:WORD_1 src1_sel:DWORD
	v_lshrrev_b32_e32 v39, 16, v28
	v_fma_f16 v23, v6, v26, v23
	v_fma_f16 v6, v6, v36, -v25
	v_mul_f16_sdwa v25, v7, v38 dst_sel:DWORD dst_unused:UNUSED_PAD src0_sel:WORD_1 src1_sel:DWORD
	v_mul_f16_sdwa v26, v7, v27 dst_sel:DWORD dst_unused:UNUSED_PAD src0_sel:WORD_1 src1_sel:DWORD
	s_waitcnt lgkmcnt(1)
	v_lshrrev_b32_e32 v40, 16, v29
	v_fma_f16 v25, v7, v27, v25
	v_fma_f16 v7, v7, v38, -v26
	v_mul_f16_sdwa v26, v8, v39 dst_sel:DWORD dst_unused:UNUSED_PAD src0_sel:WORD_1 src1_sel:DWORD
	v_mul_f16_sdwa v27, v8, v28 dst_sel:DWORD dst_unused:UNUSED_PAD src0_sel:WORD_1 src1_sel:DWORD
	v_lshrrev_b32_e32 v41, 16, v30
	v_fma_f16 v26, v8, v28, v26
	v_fma_f16 v8, v8, v39, -v27
	v_mul_f16_sdwa v27, v9, v40 dst_sel:DWORD dst_unused:UNUSED_PAD src0_sel:WORD_1 src1_sel:DWORD
	v_mul_f16_sdwa v28, v9, v29 dst_sel:DWORD dst_unused:UNUSED_PAD src0_sel:WORD_1 src1_sel:DWORD
	s_waitcnt lgkmcnt(0)
	v_lshrrev_b32_e32 v42, 16, v37
	v_fma_f16 v27, v9, v29, v27
	v_fma_f16 v9, v9, v40, -v28
	v_mul_f16_sdwa v28, v10, v41 dst_sel:DWORD dst_unused:UNUSED_PAD src0_sel:WORD_1 src1_sel:DWORD
	v_mul_f16_sdwa v29, v10, v30 dst_sel:DWORD dst_unused:UNUSED_PAD src0_sel:WORD_1 src1_sel:DWORD
	v_fma_f16 v28, v10, v30, v28
	v_fma_f16 v10, v10, v41, -v29
	v_mul_f16_sdwa v29, v11, v42 dst_sel:DWORD dst_unused:UNUSED_PAD src0_sel:WORD_1 src1_sel:DWORD
	v_mul_f16_sdwa v30, v11, v37 dst_sel:DWORD dst_unused:UNUSED_PAD src0_sel:WORD_1 src1_sel:DWORD
	v_fma_f16 v29, v11, v37, v29
	v_fma_f16 v11, v11, v42, -v30
	v_add_f16_e32 v30, v17, v43
	v_add_f16_sdwa v31, v17, v0 dst_sel:DWORD dst_unused:UNUSED_PAD src0_sel:WORD_1 src1_sel:DWORD
	v_add_f16_e32 v30, v30, v18
	v_add_f16_e32 v31, v31, v1
	;; [unrolled: 1-line block ×21, first 2 shown]
	v_sub_f16_e32 v0, v0, v11
	v_add_f16_e32 v30, v30, v29
	v_add_f16_e32 v31, v31, v11
	;; [unrolled: 1-line block ×3, first 2 shown]
	v_sub_f16_e32 v29, v43, v29
	s_mov_b32 s12, 0xb770
	v_mul_f16_e32 v11, 0xb770, v0
	v_mul_f16_e32 v35, 0x3b15, v33
	s_movk_i32 s14, 0x3770
	s_mov_b32 s3, 0xba95
	v_mul_f16_e32 v37, 0xba95, v0
	s_movk_i32 s4, 0x388b
	v_mul_f16_e32 v39, 0x388b, v33
	s_movk_i32 s5, 0x3a95
	s_mov_b32 s0, 0xbbf1
	v_mul_f16_e32 v41, 0xbbf1, v0
	s_movk_i32 s1, 0x2fb7
	v_mul_f16_e32 v43, 0x2fb7, v33
	s_movk_i32 s2, 0x3bf1
	s_mov_b32 s15, 0xbb7b
	v_mul_f16_e32 v45, 0xbb7b, v0
	s_mov_b32 s16, 0xb5ac
	v_mul_f16_e32 v62, 0xb5ac, v33
	s_movk_i32 s17, 0x3b7b
	s_mov_b32 s18, 0xb94e
	v_mul_f16_e32 v64, 0xb94e, v0
	s_mov_b32 s19, 0xb9fd
	;; [unrolled: 5-line block ×3, first 2 shown]
	v_mul_f16_e32 v33, 0xbbc4, v33
	s_movk_i32 s23, 0x33a8
	v_fma_f16 v34, v32, s13, v11
	v_fma_f16 v36, v29, s14, v35
	v_fma_f16 v11, v32, s13, -v11
	v_fma_f16 v35, v29, s12, v35
	v_fma_f16 v38, v32, s4, v37
	v_fma_f16 v40, v29, s5, v39
	v_fma_f16 v37, v32, s4, -v37
	v_fma_f16 v39, v29, s3, v39
	;; [unrolled: 4-line block ×6, first 2 shown]
	v_add_f16_e32 v32, v1, v10
	v_sub_f16_e32 v1, v1, v10
	v_add_f16_e32 v34, v17, v34
	v_add_f16_sdwa v36, v17, v36 dst_sel:DWORD dst_unused:UNUSED_PAD src0_sel:WORD_1 src1_sel:DWORD
	v_add_f16_e32 v11, v17, v11
	v_add_f16_sdwa v35, v17, v35 dst_sel:DWORD dst_unused:UNUSED_PAD src0_sel:WORD_1 src1_sel:DWORD
	;; [unrolled: 2-line block ×12, first 2 shown]
	v_add_f16_e32 v29, v18, v28
	v_mul_f16_e32 v10, 0xba95, v1
	v_sub_f16_e32 v18, v18, v28
	v_fma_f16 v28, v29, s4, v10
	v_mul_f16_e32 v33, 0x388b, v32
	v_fma_f16 v10, v29, s4, -v10
	v_add_f16_e32 v28, v28, v34
	v_fma_f16 v34, v18, s5, v33
	v_add_f16_e32 v10, v10, v11
	v_fma_f16 v11, v18, s3, v33
	v_mul_f16_e32 v33, 0xbb7b, v1
	v_add_f16_e32 v34, v34, v36
	v_add_f16_e32 v11, v11, v35
	v_fma_f16 v35, v29, s16, v33
	v_mul_f16_e32 v36, 0xb5ac, v32
	v_fma_f16 v33, v29, s16, -v33
	v_add_f16_e32 v35, v35, v38
	v_fma_f16 v38, v18, s17, v36
	v_add_f16_e32 v33, v33, v37
	v_fma_f16 v36, v18, s15, v36
	v_mul_f16_e32 v37, 0xb3a8, v1
	v_add_f16_e32 v38, v38, v40
	v_add_f16_e32 v36, v36, v39
	;; [unrolled: 10-line block ×4, first 2 shown]
	v_fma_f16 v62, v29, s1, v45
	v_mul_f16_e32 v63, 0x2fb7, v32
	v_fma_f16 v45, v29, s1, -v45
	v_mul_f16_e32 v1, 0x3770, v1
	v_add_f16_e32 v62, v62, v65
	v_fma_f16 v65, v18, s0, v63
	v_add_f16_e32 v45, v45, v64
	v_fma_f16 v63, v18, s2, v63
	v_fma_f16 v64, v29, s13, v1
	v_mul_f16_e32 v32, 0x3b15, v32
	v_fma_f16 v1, v29, s13, -v1
	v_add_f16_e32 v63, v63, v66
	v_fma_f16 v66, v18, s12, v32
	v_add_f16_e32 v0, v1, v0
	v_fma_f16 v1, v18, s14, v32
	v_add_f16_e32 v18, v2, v9
	v_sub_f16_e32 v2, v2, v9
	v_add_f16_e32 v1, v1, v17
	v_add_f16_e32 v17, v19, v27
	v_mul_f16_e32 v9, 0xbbf1, v2
	v_sub_f16_e32 v19, v19, v27
	v_fma_f16 v27, v17, s1, v9
	v_add_f16_e32 v27, v27, v28
	v_mul_f16_e32 v28, 0x2fb7, v18
	v_fma_f16 v9, v17, s1, -v9
	v_add_f16_e32 v9, v9, v10
	v_fma_f16 v10, v19, s0, v28
	v_add_f16_e32 v10, v10, v11
	v_mul_f16_e32 v11, 0xb3a8, v2
	v_fma_f16 v29, v19, s2, v28
	v_fma_f16 v28, v17, s22, v11
	v_fma_f16 v11, v17, s22, -v11
	v_mul_f16_e32 v32, 0xbbc4, v18
	v_add_f16_e32 v11, v11, v33
	v_mul_f16_e32 v33, 0x3b7b, v2
	v_add_f16_e32 v29, v29, v34
	v_add_f16_e32 v28, v28, v35
	v_fma_f16 v34, v19, s23, v32
	v_fma_f16 v32, v19, s21, v32
	;; [unrolled: 1-line block ×3, first 2 shown]
	v_fma_f16 v33, v17, s16, -v33
	v_add_f16_e32 v32, v32, v36
	v_mul_f16_e32 v36, 0xb5ac, v18
	v_add_f16_e32 v33, v33, v37
	v_mul_f16_e32 v37, 0x3770, v2
	v_add_f16_e32 v34, v34, v38
	v_add_f16_e32 v35, v35, v39
	v_fma_f16 v38, v19, s15, v36
	v_fma_f16 v36, v19, s17, v36
	;; [unrolled: 1-line block ×3, first 2 shown]
	v_fma_f16 v37, v17, s13, -v37
	v_add_f16_e32 v36, v36, v40
	v_mul_f16_e32 v40, 0x3b15, v18
	v_add_f16_e32 v37, v37, v41
	v_mul_f16_e32 v41, 0xba95, v2
	v_add_f16_e32 v38, v38, v42
	v_add_f16_e32 v39, v39, v43
	v_fma_f16 v42, v19, s12, v40
	v_fma_f16 v40, v19, s14, v40
	;; [unrolled: 1-line block ×3, first 2 shown]
	v_fma_f16 v41, v17, s4, -v41
	v_mul_f16_e32 v2, 0xb94e, v2
	v_add_f16_e32 v40, v40, v44
	v_mul_f16_e32 v44, 0x388b, v18
	v_add_f16_e32 v41, v41, v45
	v_fma_f16 v45, v17, s19, v2
	v_mul_f16_e32 v18, 0xb9fd, v18
	v_fma_f16 v2, v17, s19, -v2
	v_add_f16_e32 v0, v2, v0
	v_fma_f16 v2, v19, s18, v18
	v_add_f16_e32 v17, v3, v8
	v_sub_f16_e32 v3, v3, v8
	v_add_f16_e32 v1, v2, v1
	v_add_f16_e32 v2, v20, v26
	v_mul_f16_e32 v8, 0xbb7b, v3
	v_add_f16_e32 v42, v42, v46
	v_add_f16_e32 v43, v43, v62
	v_fma_f16 v46, v19, s5, v44
	v_fma_f16 v44, v19, s3, v44
	;; [unrolled: 1-line block ×3, first 2 shown]
	v_sub_f16_e32 v18, v20, v26
	v_fma_f16 v19, v2, s16, v8
	v_mul_f16_e32 v20, 0xb5ac, v17
	v_fma_f16 v8, v2, s16, -v8
	v_add_f16_e32 v8, v8, v9
	v_fma_f16 v9, v18, s15, v20
	v_add_f16_e32 v9, v9, v10
	v_mul_f16_e32 v10, 0x394e, v3
	v_add_f16_e32 v19, v19, v27
	v_fma_f16 v26, v18, s17, v20
	v_fma_f16 v20, v2, s19, v10
	v_mul_f16_e32 v27, 0xb9fd, v17
	v_fma_f16 v10, v2, s19, -v10
	v_add_f16_e32 v20, v20, v28
	v_fma_f16 v28, v18, s18, v27
	v_add_f16_e32 v10, v10, v11
	v_fma_f16 v11, v18, s20, v27
	v_mul_f16_e32 v27, 0x3770, v3
	v_add_f16_e32 v26, v26, v29
	v_fma_f16 v29, v2, s13, v27
	v_fma_f16 v27, v2, s13, -v27
	v_add_f16_e32 v11, v11, v32
	v_mul_f16_e32 v32, 0x3b15, v17
	v_add_f16_e32 v27, v27, v33
	v_mul_f16_e32 v33, 0xbbf1, v3
	v_add_f16_e32 v28, v28, v34
	v_add_f16_e32 v29, v29, v35
	v_fma_f16 v34, v18, s12, v32
	v_fma_f16 v32, v18, s14, v32
	;; [unrolled: 1-line block ×3, first 2 shown]
	v_fma_f16 v33, v2, s1, -v33
	v_add_f16_e32 v32, v32, v36
	v_mul_f16_e32 v36, 0x2fb7, v17
	v_add_f16_e32 v33, v33, v37
	v_mul_f16_e32 v37, 0x33a8, v3
	v_add_f16_e32 v34, v34, v38
	v_add_f16_e32 v35, v35, v39
	v_fma_f16 v38, v18, s2, v36
	v_fma_f16 v36, v18, s0, v36
	;; [unrolled: 1-line block ×3, first 2 shown]
	v_fma_f16 v37, v2, s22, -v37
	v_mul_f16_e32 v3, 0x3a95, v3
	v_add_f16_e32 v36, v36, v40
	v_mul_f16_e32 v40, 0xbbc4, v17
	v_add_f16_e32 v37, v37, v41
	v_fma_f16 v41, v2, s4, v3
	v_mul_f16_e32 v17, 0x388b, v17
	v_fma_f16 v2, v2, s4, -v3
	v_add_f16_e32 v0, v2, v0
	v_fma_f16 v2, v18, s5, v17
	v_add_f16_e32 v3, v4, v7
	v_sub_f16_e32 v4, v4, v7
	v_add_f16_e32 v1, v2, v1
	v_add_f16_e32 v2, v21, v25
	v_mul_f16_e32 v7, 0xb94e, v4
	v_add_f16_e32 v38, v38, v42
	v_add_f16_e32 v39, v39, v43
	v_fma_f16 v42, v18, s21, v40
	v_fma_f16 v40, v18, s23, v40
	v_fma_f16 v43, v18, s3, v17
	v_fma_f16 v18, v2, s19, v7
	v_sub_f16_e32 v17, v21, v25
	v_add_f16_e32 v18, v18, v19
	v_mul_f16_e32 v19, 0xb9fd, v3
	v_fma_f16 v7, v2, s19, -v7
	v_add_f16_e32 v7, v7, v8
	v_fma_f16 v8, v17, s18, v19
	v_add_f16_e32 v8, v8, v9
	v_mul_f16_e32 v9, 0x3bf1, v4
	v_fma_f16 v21, v17, s20, v19
	v_fma_f16 v19, v2, s1, v9
	v_add_f16_e32 v19, v19, v20
	v_mul_f16_e32 v20, 0x2fb7, v3
	v_fma_f16 v9, v2, s1, -v9
	v_add_f16_e32 v9, v9, v10
	v_fma_f16 v10, v17, s2, v20
	v_add_f16_e32 v10, v10, v11
	v_mul_f16_e32 v11, 0xba95, v4
	v_fma_f16 v25, v17, s0, v20
	v_fma_f16 v20, v2, s4, v11
	v_fma_f16 v11, v2, s4, -v11
	v_add_f16_e32 v21, v21, v26
	v_mul_f16_e32 v26, 0x388b, v3
	v_add_f16_e32 v11, v11, v27
	v_mul_f16_e32 v27, 0x33a8, v4
	v_add_f16_e32 v25, v25, v28
	v_add_f16_e32 v20, v20, v29
	v_fma_f16 v28, v17, s5, v26
	v_fma_f16 v26, v17, s3, v26
	;; [unrolled: 1-line block ×3, first 2 shown]
	v_fma_f16 v27, v2, s22, -v27
	v_add_f16_e32 v26, v26, v32
	v_mul_f16_e32 v32, 0xbbc4, v3
	v_add_f16_e32 v27, v27, v33
	v_mul_f16_e32 v33, 0x3770, v4
	v_add_f16_e32 v28, v28, v34
	v_add_f16_e32 v29, v29, v35
	v_fma_f16 v34, v17, s21, v32
	v_fma_f16 v32, v17, s23, v32
	;; [unrolled: 1-line block ×3, first 2 shown]
	v_fma_f16 v33, v2, s13, -v33
	v_mul_f16_e32 v4, 0xbb7b, v4
	v_add_f16_e32 v32, v32, v36
	v_mul_f16_e32 v36, 0x3b15, v3
	v_add_f16_e32 v33, v33, v37
	v_fma_f16 v37, v2, s16, v4
	v_mul_f16_e32 v3, 0xb5ac, v3
	v_fma_f16 v2, v2, s16, -v4
	v_add_f16_e32 v35, v35, v39
	v_fma_f16 v39, v17, s17, v3
	v_add_f16_e32 v0, v2, v0
	v_fma_f16 v2, v17, s15, v3
	v_add_f16_e32 v3, v5, v6
	v_sub_f16_e32 v5, v5, v6
	v_add_f16_e32 v1, v2, v1
	v_add_f16_e32 v2, v22, v23
	v_mul_f16_e32 v6, 0xb3a8, v5
	v_add_f16_e32 v34, v34, v38
	v_fma_f16 v38, v17, s12, v36
	v_fma_f16 v36, v17, s14, v36
	;; [unrolled: 1-line block ×3, first 2 shown]
	v_sub_f16_e32 v4, v22, v23
	v_add_f16_e32 v17, v17, v18
	v_mul_f16_e32 v18, 0xbbc4, v3
	v_fma_f16 v6, v2, s22, -v6
	v_add_f16_e32 v6, v6, v7
	v_fma_f16 v7, v4, s21, v18
	v_add_f16_e32 v7, v7, v8
	v_mul_f16_e32 v8, 0x3770, v5
	v_fma_f16 v22, v4, s23, v18
	v_fma_f16 v18, v2, s13, v8
	v_add_f16_e32 v18, v18, v19
	v_mul_f16_e32 v19, 0x3b15, v3
	v_fma_f16 v8, v2, s13, -v8
	v_add_f16_e32 v8, v8, v9
	v_fma_f16 v9, v4, s14, v19
	v_add_f16_e32 v9, v9, v10
	v_mul_f16_e32 v10, 0xb94e, v5
	v_add_f16_e32 v21, v22, v21
	v_fma_f16 v22, v4, s12, v19
	v_fma_f16 v19, v2, s19, v10
	v_add_f16_e32 v19, v19, v20
	v_mul_f16_e32 v20, 0xb9fd, v3
	v_fma_f16 v10, v2, s19, -v10
	v_fma_f16 v23, v4, s20, v20
	v_add_f16_e32 v10, v10, v11
	v_fma_f16 v11, v4, s18, v20
	v_mul_f16_e32 v20, 0x3a95, v5
	v_add_f16_e32 v22, v22, v25
	v_fma_f16 v25, v2, s4, v20
	v_fma_f16 v20, v2, s4, -v20
	v_add_f16_e32 v11, v11, v26
	v_mul_f16_e32 v26, 0x388b, v3
	v_add_f16_e32 v20, v20, v27
	v_mul_f16_e32 v27, 0xbb7b, v5
	v_add_f16_e32 v65, v65, v67
	v_add_f16_e32 v23, v23, v28
	;; [unrolled: 1-line block ×3, first 2 shown]
	v_fma_f16 v28, v4, s3, v26
	v_fma_f16 v26, v4, s5, v26
	;; [unrolled: 1-line block ×3, first 2 shown]
	v_fma_f16 v27, v2, s16, -v27
	v_mul_f16_e32 v5, 0x3bf1, v5
	v_add_f16_e32 v64, v64, v68
	v_add_f16_e32 v66, v66, v69
	;; [unrolled: 1-line block ×4, first 2 shown]
	v_mul_f16_e32 v32, 0xb5ac, v3
	v_add_f16_e32 v27, v27, v33
	v_fma_f16 v33, v2, s1, v5
	v_mul_f16_e32 v3, 0x2fb7, v3
	v_fma_f16 v2, v2, s1, -v5
	v_add_f16_e32 v45, v45, v64
	v_add_f16_e32 v62, v62, v66
	;; [unrolled: 1-line block ×4, first 2 shown]
	v_fma_f16 v2, v4, s2, v3
	v_add_f16_e32 v44, v44, v63
	v_add_f16_e32 v41, v41, v45
	;; [unrolled: 1-line block ×6, first 2 shown]
	v_fma_f16 v34, v4, s17, v32
	v_fma_f16 v35, v4, s0, v3
	v_add_f16_e32 v1, v2, v1
	v_pack_b32_f16 v2, v30, v31
	v_pack_b32_f16 v3, v17, v21
	v_add_f16_e32 v40, v40, v44
	v_add_f16_e32 v37, v37, v41
	;; [unrolled: 1-line block ×4, first 2 shown]
	ds_write2_b32 v47, v2, v3 offset1:156
	v_pack_b32_f16 v2, v18, v22
	v_pack_b32_f16 v3, v19, v23
	v_add_f16_e32 v36, v36, v40
	v_fma_f16 v32, v4, s15, v32
	v_add_f16_e32 v33, v33, v37
	v_add_f16_e32 v35, v35, v39
	ds_write2_b32 v16, v2, v3 offset0:56 offset1:212
	v_pack_b32_f16 v2, v25, v28
	v_pack_b32_f16 v3, v29, v34
	v_add_f16_e32 v32, v32, v36
	ds_write2_b32 v15, v2, v3 offset0:48 offset1:204
	v_pack_b32_f16 v2, v33, v35
	v_pack_b32_f16 v0, v0, v1
	ds_write2_b32 v14, v2, v0 offset0:40 offset1:196
	v_pack_b32_f16 v0, v27, v32
	v_pack_b32_f16 v1, v20, v26
	ds_write2_b32 v13, v0, v1 offset0:96 offset1:252
	v_pack_b32_f16 v0, v10, v11
	v_pack_b32_f16 v1, v8, v9
	ds_write2_b32 v12, v0, v1 offset0:24 offset1:180
	v_pack_b32_f16 v0, v6, v7
	ds_write_b32 v47, v0 offset:7488
	s_waitcnt lgkmcnt(0)
	s_barrier
	ds_read2_b32 v[0:1], v47 offset1:156
	s_mov_b32 s2, 0xfc7729e9
	s_mov_b32 s3, 0x3f402864
	s_movk_i32 s4, 0x1ff
	s_movk_i32 s5, 0xffe
	s_waitcnt lgkmcnt(0)
	v_lshrrev_b32_e32 v8, 16, v0
	v_mul_f16_sdwa v2, v60, v8 dst_sel:DWORD dst_unused:UNUSED_PAD src0_sel:WORD_1 src1_sel:DWORD
	v_fma_f16 v2, v60, v0, v2
	v_cvt_f32_f16_e32 v4, v2
	v_mad_u64_u32 v[2:3], s[0:1], s10, v24, 0
	v_mul_f16_sdwa v0, v60, v0 dst_sel:DWORD dst_unused:UNUSED_PAD src0_sel:WORD_1 src1_sel:DWORD
	v_cvt_f64_f32_e32 v[4:5], v4
	v_fma_f16 v0, v60, v8, -v0
	s_movk_i32 s10, 0x40f
	v_mul_f64 v[4:5], v[4:5], s[2:3]
	v_mad_u64_u32 v[6:7], s[0:1], s11, v24, v[3:4]
	v_and_or_b32 v4, v5, s4, v4
	v_cmp_ne_u32_e32 vcc, 0, v4
	v_mov_b32_e32 v3, v6
	v_cndmask_b32_e64 v4, 0, 1, vcc
	v_lshrrev_b32_e32 v6, 8, v5
	v_bfe_u32 v7, v5, 20, 11
	v_and_or_b32 v4, v6, s5, v4
	v_sub_u32_e32 v9, 0x3f1, v7
	v_or_b32_e32 v6, 0x1000, v4
	v_med3_i32 v9, v9, 0, 13
	v_lshrrev_b32_e32 v10, v9, v6
	v_lshlrev_b32_e32 v9, v9, v10
	v_cmp_ne_u32_e32 vcc, v9, v6
	v_cndmask_b32_e64 v6, 0, 1, vcc
	v_add_u32_e32 v9, 0xfffffc10, v7
	v_or_b32_e32 v6, v10, v6
	v_lshl_or_b32 v7, v9, 12, v4
	v_cmp_gt_i32_e32 vcc, 1, v9
	v_cndmask_b32_e32 v6, v7, v6, vcc
	v_and_b32_e32 v7, 7, v6
	v_cmp_lt_i32_e32 vcc, 5, v7
	v_cmp_eq_u32_e64 s[0:1], 3, v7
	v_cvt_f32_f16_e32 v7, v0
	v_lshrrev_b32_e32 v6, 2, v6
	s_or_b64 vcc, s[0:1], vcc
	v_addc_co_u32_e32 v8, vcc, 0, v6, vcc
	v_cvt_f64_f32_e32 v[6:7], v7
	v_mov_b32_e32 v0, 0x7c00
	v_cmp_gt_i32_e32 vcc, 31, v9
	v_cndmask_b32_e32 v8, v0, v8, vcc
	v_mul_f64 v[6:7], v[6:7], s[2:3]
	v_cmp_ne_u32_e32 vcc, 0, v4
	v_cndmask_b32_e64 v4, 0, 1, vcc
	v_lshl_or_b32 v4, v4, 9, v0
	v_cmp_eq_u32_e32 vcc, s10, v9
	v_cndmask_b32_e32 v4, v8, v4, vcc
	v_lshrrev_b32_e32 v5, 16, v5
	s_mov_b32 s11, 0x8000
	v_and_or_b32 v8, v5, s11, v4
	v_and_or_b32 v4, v7, s4, v6
	v_cmp_ne_u32_e32 vcc, 0, v4
	v_cndmask_b32_e64 v4, 0, 1, vcc
	v_lshrrev_b32_e32 v5, 8, v7
	v_bfe_u32 v6, v7, 20, 11
	v_and_or_b32 v4, v5, s5, v4
	v_sub_u32_e32 v9, 0x3f1, v6
	v_or_b32_e32 v5, 0x1000, v4
	v_med3_i32 v9, v9, 0, 13
	v_lshrrev_b32_e32 v10, v9, v5
	v_lshlrev_b32_e32 v9, v9, v10
	v_cmp_ne_u32_e32 vcc, v9, v5
	v_cndmask_b32_e64 v5, 0, 1, vcc
	v_add_u32_e32 v6, 0xfffffc10, v6
	v_or_b32_e32 v5, v10, v5
	v_lshl_or_b32 v9, v6, 12, v4
	v_cmp_gt_i32_e32 vcc, 1, v6
	v_cndmask_b32_e32 v5, v9, v5, vcc
	v_and_b32_e32 v9, 7, v5
	v_cmp_lt_i32_e32 vcc, 5, v9
	v_cmp_eq_u32_e64 s[0:1], 3, v9
	v_lshrrev_b32_e32 v5, 2, v5
	s_or_b64 vcc, s[0:1], vcc
	v_addc_co_u32_e32 v5, vcc, 0, v5, vcc
	v_cmp_gt_i32_e32 vcc, 31, v6
	v_cndmask_b32_e32 v9, v0, v5, vcc
	v_cmp_ne_u32_e32 vcc, 0, v4
	v_cndmask_b32_e64 v4, 0, 1, vcc
	v_lshl_or_b32 v10, v4, 9, v0
	v_mad_u64_u32 v[4:5], s[0:1], s8, v58, 0
	v_cmp_eq_u32_e32 vcc, s10, v6
	v_cndmask_b32_e32 v9, v9, v10, vcc
	v_mad_u64_u32 v[5:6], s[0:1], s9, v58, v[5:6]
	v_lshrrev_b32_e32 v10, 16, v1
	v_mul_f16_sdwa v6, v61, v10 dst_sel:DWORD dst_unused:UNUSED_PAD src0_sel:WORD_1 src1_sel:DWORD
	v_fma_f16 v6, v61, v1, v6
	v_cvt_f32_f16_e32 v6, v6
	v_lshrrev_b32_e32 v7, 16, v7
	v_and_or_b32 v9, v7, s11, v9
	v_lshlrev_b64 v[2:3], 2, v[2:3]
	v_cvt_f64_f32_e32 v[6:7], v6
	v_and_b32_e32 v8, 0xffff, v8
	v_lshl_or_b32 v8, v9, 16, v8
	v_mov_b32_e32 v9, s7
	v_mul_f64 v[6:7], v[6:7], s[2:3]
	v_add_co_u32_e32 v11, vcc, s6, v2
	v_addc_co_u32_e32 v9, vcc, v9, v3, vcc
	v_lshlrev_b64 v[2:3], 2, v[4:5]
	v_mul_f16_sdwa v1, v61, v1 dst_sel:DWORD dst_unused:UNUSED_PAD src0_sel:WORD_1 src1_sel:DWORD
	v_add_co_u32_e32 v2, vcc, v11, v2
	v_addc_co_u32_e32 v3, vcc, v9, v3, vcc
	v_and_or_b32 v4, v7, s4, v6
	v_cmp_ne_u32_e32 vcc, 0, v4
	v_cndmask_b32_e64 v4, 0, 1, vcc
	v_lshrrev_b32_e32 v5, 8, v7
	v_and_or_b32 v6, v5, s5, v4
	v_bfe_u32 v5, v7, 20, 11
	global_store_dword v[2:3], v8, off
	v_sub_u32_e32 v8, 0x3f1, v5
	v_or_b32_e32 v4, 0x1000, v6
	v_med3_i32 v8, v8, 0, 13
	v_lshrrev_b32_e32 v9, v8, v4
	v_lshlrev_b32_e32 v8, v8, v9
	v_cmp_ne_u32_e32 vcc, v8, v4
	v_fma_f16 v1, v61, v10, -v1
	v_cndmask_b32_e64 v4, 0, 1, vcc
	v_add_u32_e32 v8, 0xfffffc10, v5
	v_cvt_f32_f16_e32 v1, v1
	v_or_b32_e32 v4, v9, v4
	v_lshl_or_b32 v5, v8, 12, v6
	v_cmp_gt_i32_e32 vcc, 1, v8
	v_cndmask_b32_e32 v4, v5, v4, vcc
	v_and_b32_e32 v5, 7, v4
	v_cmp_lt_i32_e32 vcc, 5, v5
	v_cmp_eq_u32_e64 s[0:1], 3, v5
	v_lshrrev_b32_e32 v9, 2, v4
	v_cvt_f64_f32_e32 v[4:5], v1
	s_or_b64 vcc, s[0:1], vcc
	v_addc_co_u32_e32 v1, vcc, 0, v9, vcc
	v_mul_f64 v[4:5], v[4:5], s[2:3]
	v_cmp_gt_i32_e32 vcc, 31, v8
	v_cndmask_b32_e32 v1, v0, v1, vcc
	v_cmp_ne_u32_e32 vcc, 0, v6
	v_cndmask_b32_e64 v6, 0, 1, vcc
	v_lshl_or_b32 v6, v6, 9, v0
	v_cmp_eq_u32_e32 vcc, s10, v8
	v_cndmask_b32_e32 v1, v1, v6, vcc
	v_and_or_b32 v4, v5, s4, v4
	v_lshrrev_b32_e32 v6, 16, v7
	v_cmp_ne_u32_e32 vcc, 0, v4
	v_and_or_b32 v1, v6, s11, v1
	v_cndmask_b32_e64 v4, 0, 1, vcc
	v_lshrrev_b32_e32 v6, 8, v5
	v_bfe_u32 v7, v5, 20, 11
	v_and_or_b32 v4, v6, s5, v4
	v_sub_u32_e32 v8, 0x3f1, v7
	v_or_b32_e32 v6, 0x1000, v4
	v_med3_i32 v8, v8, 0, 13
	v_lshrrev_b32_e32 v9, v8, v6
	v_lshlrev_b32_e32 v8, v8, v9
	v_cmp_ne_u32_e32 vcc, v8, v6
	v_cndmask_b32_e64 v6, 0, 1, vcc
	v_add_u32_e32 v8, 0xfffffc10, v7
	v_or_b32_e32 v6, v9, v6
	v_lshl_or_b32 v7, v8, 12, v4
	v_cmp_gt_i32_e32 vcc, 1, v8
	v_cndmask_b32_e32 v6, v7, v6, vcc
	v_and_b32_e32 v7, 7, v6
	v_cmp_lt_i32_e32 vcc, 5, v7
	v_cmp_eq_u32_e64 s[0:1], 3, v7
	v_lshrrev_b32_e32 v6, 2, v6
	s_or_b64 vcc, s[0:1], vcc
	v_addc_co_u32_e32 v6, vcc, 0, v6, vcc
	v_cmp_gt_i32_e32 vcc, 31, v8
	v_cndmask_b32_e32 v9, v0, v6, vcc
	ds_read2_b32 v[6:7], v16 offset0:56 offset1:212
	v_cmp_ne_u32_e32 vcc, 0, v4
	v_cndmask_b32_e64 v4, 0, 1, vcc
	v_lshl_or_b32 v4, v4, 9, v0
	v_cmp_eq_u32_e32 vcc, s10, v8
	s_waitcnt lgkmcnt(0)
	v_lshrrev_b32_e32 v8, 16, v6
	v_cndmask_b32_e32 v4, v9, v4, vcc
	v_mul_f16_sdwa v9, v59, v8 dst_sel:DWORD dst_unused:UNUSED_PAD src0_sel:WORD_1 src1_sel:DWORD
	v_fma_f16 v9, v59, v6, v9
	v_cvt_f32_f16_e32 v9, v9
	v_lshrrev_b32_e32 v5, 16, v5
	v_and_or_b32 v4, v5, s11, v4
	v_and_b32_e32 v1, 0xffff, v1
	v_lshl_or_b32 v10, v4, 16, v1
	v_cvt_f64_f32_e32 v[4:5], v9
	s_mul_i32 s0, s9, 0x270
	s_mul_hi_u32 s6, s8, 0x270
	s_add_i32 s6, s6, s0
	v_mul_f64 v[4:5], v[4:5], s[2:3]
	s_mul_i32 s7, s8, 0x270
	v_mov_b32_e32 v9, s6
	v_add_co_u32_e32 v1, vcc, s7, v2
	v_addc_co_u32_e32 v2, vcc, v3, v9, vcc
	global_store_dword v[1:2], v10, off
	v_and_or_b32 v3, v5, s4, v4
	v_cmp_ne_u32_e32 vcc, 0, v3
	v_cndmask_b32_e64 v3, 0, 1, vcc
	v_lshrrev_b32_e32 v4, 8, v5
	v_and_or_b32 v9, v4, s5, v3
	v_bfe_u32 v4, v5, 20, 11
	v_sub_u32_e32 v10, 0x3f1, v4
	v_or_b32_e32 v3, 0x1000, v9
	v_med3_i32 v10, v10, 0, 13
	v_lshrrev_b32_e32 v11, v10, v3
	v_lshlrev_b32_e32 v10, v10, v11
	v_mul_f16_sdwa v6, v59, v6 dst_sel:DWORD dst_unused:UNUSED_PAD src0_sel:WORD_1 src1_sel:DWORD
	v_cmp_ne_u32_e32 vcc, v10, v3
	v_fma_f16 v6, v59, v8, -v6
	v_cndmask_b32_e64 v3, 0, 1, vcc
	v_add_u32_e32 v10, 0xfffffc10, v4
	v_cvt_f32_f16_e32 v6, v6
	v_or_b32_e32 v3, v11, v3
	v_lshl_or_b32 v4, v10, 12, v9
	v_cmp_gt_i32_e32 vcc, 1, v10
	v_cndmask_b32_e32 v3, v4, v3, vcc
	v_and_b32_e32 v4, 7, v3
	v_cmp_lt_i32_e32 vcc, 5, v4
	v_cmp_eq_u32_e64 s[0:1], 3, v4
	v_lshrrev_b32_e32 v8, 2, v3
	v_cvt_f64_f32_e32 v[3:4], v6
	s_or_b64 vcc, s[0:1], vcc
	v_addc_co_u32_e32 v6, vcc, 0, v8, vcc
	v_mul_f64 v[3:4], v[3:4], s[2:3]
	v_cmp_gt_i32_e32 vcc, 31, v10
	v_cndmask_b32_e32 v6, v0, v6, vcc
	v_cmp_ne_u32_e32 vcc, 0, v9
	v_cndmask_b32_e64 v8, 0, 1, vcc
	v_lshl_or_b32 v8, v8, 9, v0
	v_cmp_eq_u32_e32 vcc, s10, v10
	v_cndmask_b32_e32 v6, v6, v8, vcc
	v_and_or_b32 v3, v4, s4, v3
	v_lshrrev_b32_e32 v5, 16, v5
	v_cmp_ne_u32_e32 vcc, 0, v3
	v_and_or_b32 v8, v5, s11, v6
	v_cndmask_b32_e64 v3, 0, 1, vcc
	v_lshrrev_b32_e32 v5, 8, v4
	v_bfe_u32 v6, v4, 20, 11
	v_and_or_b32 v3, v5, s5, v3
	v_sub_u32_e32 v9, 0x3f1, v6
	v_or_b32_e32 v5, 0x1000, v3
	v_med3_i32 v9, v9, 0, 13
	v_lshrrev_b32_e32 v10, v9, v5
	v_lshlrev_b32_e32 v9, v9, v10
	v_cmp_ne_u32_e32 vcc, v9, v5
	v_cndmask_b32_e64 v5, 0, 1, vcc
	v_add_u32_e32 v6, 0xfffffc10, v6
	v_or_b32_e32 v5, v10, v5
	v_lshl_or_b32 v9, v6, 12, v3
	v_cmp_gt_i32_e32 vcc, 1, v6
	v_cndmask_b32_e32 v5, v9, v5, vcc
	v_and_b32_e32 v9, 7, v5
	v_cmp_lt_i32_e32 vcc, 5, v9
	v_cmp_eq_u32_e64 s[0:1], 3, v9
	v_lshrrev_b32_e32 v9, 16, v7
	v_lshrrev_b32_e32 v5, 2, v5
	s_or_b64 vcc, s[0:1], vcc
	v_mul_f16_sdwa v10, v57, v9 dst_sel:DWORD dst_unused:UNUSED_PAD src0_sel:WORD_1 src1_sel:DWORD
	v_addc_co_u32_e32 v5, vcc, 0, v5, vcc
	v_fma_f16 v10, v57, v7, v10
	v_cmp_gt_i32_e32 vcc, 31, v6
	v_cvt_f32_f16_e32 v10, v10
	v_cndmask_b32_e32 v5, v0, v5, vcc
	v_cmp_ne_u32_e32 vcc, 0, v3
	v_cndmask_b32_e64 v3, 0, 1, vcc
	v_lshl_or_b32 v3, v3, 9, v0
	v_cmp_eq_u32_e32 vcc, s10, v6
	v_cndmask_b32_e32 v3, v5, v3, vcc
	v_cvt_f64_f32_e32 v[5:6], v10
	v_lshrrev_b32_e32 v4, 16, v4
	v_and_or_b32 v10, v4, s11, v3
	v_add_co_u32_e32 v1, vcc, s7, v1
	v_mul_f64 v[3:4], v[5:6], s[2:3]
	v_mov_b32_e32 v6, s6
	v_and_b32_e32 v8, 0xffff, v8
	v_addc_co_u32_e32 v2, vcc, v2, v6, vcc
	v_lshl_or_b32 v5, v10, 16, v8
	global_store_dword v[1:2], v5, off
	v_mul_f16_sdwa v7, v57, v7 dst_sel:DWORD dst_unused:UNUSED_PAD src0_sel:WORD_1 src1_sel:DWORD
	v_and_or_b32 v3, v4, s4, v3
	v_cmp_ne_u32_e32 vcc, 0, v3
	v_cndmask_b32_e64 v3, 0, 1, vcc
	v_lshrrev_b32_e32 v5, 8, v4
	v_bfe_u32 v6, v4, 20, 11
	v_and_or_b32 v3, v5, s5, v3
	v_sub_u32_e32 v8, 0x3f1, v6
	v_or_b32_e32 v5, 0x1000, v3
	v_med3_i32 v8, v8, 0, 13
	v_lshrrev_b32_e32 v10, v8, v5
	v_lshlrev_b32_e32 v8, v8, v10
	v_cmp_ne_u32_e32 vcc, v8, v5
	v_fma_f16 v7, v57, v9, -v7
	v_cndmask_b32_e64 v5, 0, 1, vcc
	v_add_u32_e32 v8, 0xfffffc10, v6
	v_cvt_f32_f16_e32 v7, v7
	v_or_b32_e32 v5, v10, v5
	v_lshl_or_b32 v6, v8, 12, v3
	v_cmp_gt_i32_e32 vcc, 1, v8
	v_cndmask_b32_e32 v5, v6, v5, vcc
	v_and_b32_e32 v6, 7, v5
	v_cmp_lt_i32_e32 vcc, 5, v6
	v_cmp_eq_u32_e64 s[0:1], 3, v6
	v_lshrrev_b32_e32 v9, 2, v5
	v_cvt_f64_f32_e32 v[5:6], v7
	s_or_b64 vcc, s[0:1], vcc
	v_addc_co_u32_e32 v7, vcc, 0, v9, vcc
	v_mul_f64 v[5:6], v[5:6], s[2:3]
	v_cmp_gt_i32_e32 vcc, 31, v8
	v_cndmask_b32_e32 v7, v0, v7, vcc
	v_cmp_ne_u32_e32 vcc, 0, v3
	v_cndmask_b32_e64 v3, 0, 1, vcc
	v_lshl_or_b32 v3, v3, 9, v0
	v_cmp_eq_u32_e32 vcc, s10, v8
	v_cndmask_b32_e32 v3, v7, v3, vcc
	v_lshrrev_b32_e32 v4, 16, v4
	v_and_or_b32 v9, v4, s11, v3
	v_and_or_b32 v3, v6, s4, v5
	v_cmp_ne_u32_e32 vcc, 0, v3
	v_cndmask_b32_e64 v3, 0, 1, vcc
	v_lshrrev_b32_e32 v4, 8, v6
	v_and_or_b32 v5, v4, s5, v3
	v_bfe_u32 v4, v6, 20, 11
	v_sub_u32_e32 v7, 0x3f1, v4
	v_or_b32_e32 v3, 0x1000, v5
	v_med3_i32 v7, v7, 0, 13
	v_lshrrev_b32_e32 v8, v7, v3
	v_lshlrev_b32_e32 v7, v7, v8
	v_cmp_ne_u32_e32 vcc, v7, v3
	v_cndmask_b32_e64 v3, 0, 1, vcc
	v_add_u32_e32 v7, 0xfffffc10, v4
	v_or_b32_e32 v3, v8, v3
	v_lshl_or_b32 v4, v7, 12, v5
	v_cmp_gt_i32_e32 vcc, 1, v7
	v_cndmask_b32_e32 v3, v4, v3, vcc
	v_and_b32_e32 v4, 7, v3
	v_cmp_lt_i32_e32 vcc, 5, v4
	v_cmp_eq_u32_e64 s[0:1], 3, v4
	v_lshrrev_b32_e32 v3, 2, v3
	s_or_b64 vcc, s[0:1], vcc
	v_addc_co_u32_e32 v8, vcc, 0, v3, vcc
	ds_read2_b32 v[3:4], v15 offset0:48 offset1:204
	v_cmp_gt_i32_e32 vcc, 31, v7
	v_cndmask_b32_e32 v8, v0, v8, vcc
	v_cmp_ne_u32_e32 vcc, 0, v5
	v_cndmask_b32_e64 v5, 0, 1, vcc
	s_waitcnt lgkmcnt(0)
	v_lshrrev_b32_e32 v10, 16, v3
	v_mul_f16_sdwa v11, v56, v10 dst_sel:DWORD dst_unused:UNUSED_PAD src0_sel:WORD_1 src1_sel:DWORD
	v_fma_f16 v11, v56, v3, v11
	v_cvt_f32_f16_e32 v11, v11
	v_lshl_or_b32 v5, v5, 9, v0
	v_cmp_eq_u32_e32 vcc, s10, v7
	v_cndmask_b32_e32 v5, v8, v5, vcc
	v_cvt_f64_f32_e32 v[7:8], v11
	v_lshrrev_b32_e32 v6, 16, v6
	v_and_or_b32 v11, v6, s11, v5
	v_add_co_u32_e32 v1, vcc, s7, v1
	v_mul_f64 v[5:6], v[7:8], s[2:3]
	v_mov_b32_e32 v8, s6
	v_and_b32_e32 v9, 0xffff, v9
	v_addc_co_u32_e32 v2, vcc, v2, v8, vcc
	v_lshl_or_b32 v7, v11, 16, v9
	global_store_dword v[1:2], v7, off
	v_mul_f16_sdwa v3, v56, v3 dst_sel:DWORD dst_unused:UNUSED_PAD src0_sel:WORD_1 src1_sel:DWORD
	v_and_or_b32 v5, v6, s4, v5
	v_cmp_ne_u32_e32 vcc, 0, v5
	v_cndmask_b32_e64 v5, 0, 1, vcc
	v_lshrrev_b32_e32 v7, 8, v6
	v_bfe_u32 v8, v6, 20, 11
	v_and_or_b32 v5, v7, s5, v5
	v_sub_u32_e32 v9, 0x3f1, v8
	v_or_b32_e32 v7, 0x1000, v5
	v_med3_i32 v9, v9, 0, 13
	v_lshrrev_b32_e32 v11, v9, v7
	v_lshlrev_b32_e32 v9, v9, v11
	v_cmp_ne_u32_e32 vcc, v9, v7
	v_fma_f16 v3, v56, v10, -v3
	v_cndmask_b32_e64 v7, 0, 1, vcc
	v_add_u32_e32 v9, 0xfffffc10, v8
	v_cvt_f32_f16_e32 v3, v3
	v_or_b32_e32 v7, v11, v7
	v_lshl_or_b32 v8, v9, 12, v5
	v_cmp_gt_i32_e32 vcc, 1, v9
	v_cndmask_b32_e32 v7, v8, v7, vcc
	v_and_b32_e32 v8, 7, v7
	v_cmp_lt_i32_e32 vcc, 5, v8
	v_cmp_eq_u32_e64 s[0:1], 3, v8
	v_lshrrev_b32_e32 v10, 2, v7
	v_cvt_f64_f32_e32 v[7:8], v3
	s_or_b64 vcc, s[0:1], vcc
	v_addc_co_u32_e32 v3, vcc, 0, v10, vcc
	v_mul_f64 v[7:8], v[7:8], s[2:3]
	v_cmp_gt_i32_e32 vcc, 31, v9
	v_cndmask_b32_e32 v3, v0, v3, vcc
	v_cmp_ne_u32_e32 vcc, 0, v5
	v_cndmask_b32_e64 v5, 0, 1, vcc
	v_lshl_or_b32 v5, v5, 9, v0
	v_cmp_eq_u32_e32 vcc, s10, v9
	v_cndmask_b32_e32 v3, v3, v5, vcc
	v_lshrrev_b32_e32 v5, 16, v6
	v_and_or_b32 v3, v5, s11, v3
	v_and_or_b32 v5, v8, s4, v7
	v_cmp_ne_u32_e32 vcc, 0, v5
	v_cndmask_b32_e64 v5, 0, 1, vcc
	v_lshrrev_b32_e32 v6, 8, v8
	v_bfe_u32 v7, v8, 20, 11
	v_and_or_b32 v5, v6, s5, v5
	v_sub_u32_e32 v9, 0x3f1, v7
	v_or_b32_e32 v6, 0x1000, v5
	v_med3_i32 v9, v9, 0, 13
	v_lshrrev_b32_e32 v10, v9, v6
	v_lshlrev_b32_e32 v9, v9, v10
	v_cmp_ne_u32_e32 vcc, v9, v6
	v_cndmask_b32_e64 v6, 0, 1, vcc
	v_add_u32_e32 v7, 0xfffffc10, v7
	v_or_b32_e32 v6, v10, v6
	v_lshl_or_b32 v9, v7, 12, v5
	v_cmp_gt_i32_e32 vcc, 1, v7
	v_cndmask_b32_e32 v6, v9, v6, vcc
	v_and_b32_e32 v9, 7, v6
	v_cmp_lt_i32_e32 vcc, 5, v9
	v_cmp_eq_u32_e64 s[0:1], 3, v9
	v_lshrrev_b32_e32 v9, 16, v4
	v_lshrrev_b32_e32 v6, 2, v6
	s_or_b64 vcc, s[0:1], vcc
	v_mul_f16_sdwa v10, v55, v9 dst_sel:DWORD dst_unused:UNUSED_PAD src0_sel:WORD_1 src1_sel:DWORD
	v_addc_co_u32_e32 v6, vcc, 0, v6, vcc
	v_fma_f16 v10, v55, v4, v10
	v_cmp_gt_i32_e32 vcc, 31, v7
	v_cvt_f32_f16_e32 v10, v10
	v_cndmask_b32_e32 v6, v0, v6, vcc
	v_cmp_ne_u32_e32 vcc, 0, v5
	v_cndmask_b32_e64 v5, 0, 1, vcc
	v_lshl_or_b32 v5, v5, 9, v0
	v_cmp_eq_u32_e32 vcc, s10, v7
	v_cndmask_b32_e32 v7, v6, v5, vcc
	v_cvt_f64_f32_e32 v[5:6], v10
	v_lshrrev_b32_e32 v8, 16, v8
	v_and_or_b32 v7, v8, s11, v7
	v_and_b32_e32 v3, 0xffff, v3
	v_mul_f64 v[5:6], v[5:6], s[2:3]
	v_lshl_or_b32 v3, v7, 16, v3
	v_mov_b32_e32 v7, s6
	v_add_co_u32_e32 v1, vcc, s7, v1
	v_addc_co_u32_e32 v2, vcc, v2, v7, vcc
	global_store_dword v[1:2], v3, off
	v_and_or_b32 v3, v6, s4, v5
	v_cmp_ne_u32_e32 vcc, 0, v3
	v_cndmask_b32_e64 v3, 0, 1, vcc
	v_lshrrev_b32_e32 v5, 8, v6
	v_bfe_u32 v7, v6, 20, 11
	v_and_or_b32 v5, v5, s5, v3
	v_sub_u32_e32 v8, 0x3f1, v7
	v_or_b32_e32 v3, 0x1000, v5
	v_med3_i32 v8, v8, 0, 13
	v_lshrrev_b32_e32 v10, v8, v3
	v_lshlrev_b32_e32 v8, v8, v10
	v_mul_f16_sdwa v4, v55, v4 dst_sel:DWORD dst_unused:UNUSED_PAD src0_sel:WORD_1 src1_sel:DWORD
	v_cmp_ne_u32_e32 vcc, v8, v3
	v_fma_f16 v4, v55, v9, -v4
	v_cndmask_b32_e64 v3, 0, 1, vcc
	v_add_u32_e32 v7, 0xfffffc10, v7
	v_cvt_f32_f16_e32 v4, v4
	v_or_b32_e32 v3, v10, v3
	v_lshl_or_b32 v8, v7, 12, v5
	v_cmp_gt_i32_e32 vcc, 1, v7
	v_cndmask_b32_e32 v3, v8, v3, vcc
	v_and_b32_e32 v8, 7, v3
	v_cmp_lt_i32_e32 vcc, 5, v8
	v_cmp_eq_u32_e64 s[0:1], 3, v8
	v_lshrrev_b32_e32 v8, 2, v3
	v_cvt_f64_f32_e32 v[3:4], v4
	s_or_b64 vcc, s[0:1], vcc
	v_addc_co_u32_e32 v8, vcc, 0, v8, vcc
	v_mul_f64 v[3:4], v[3:4], s[2:3]
	v_cmp_gt_i32_e32 vcc, 31, v7
	v_cndmask_b32_e32 v8, v0, v8, vcc
	v_cmp_ne_u32_e32 vcc, 0, v5
	v_cndmask_b32_e64 v5, 0, 1, vcc
	v_lshl_or_b32 v5, v5, 9, v0
	v_cmp_eq_u32_e32 vcc, s10, v7
	v_cndmask_b32_e32 v5, v8, v5, vcc
	v_and_or_b32 v3, v4, s4, v3
	v_lshrrev_b32_e32 v6, 16, v6
	v_cmp_ne_u32_e32 vcc, 0, v3
	v_and_or_b32 v9, v6, s11, v5
	v_cndmask_b32_e64 v3, 0, 1, vcc
	v_lshrrev_b32_e32 v5, 8, v4
	v_bfe_u32 v6, v4, 20, 11
	v_and_or_b32 v3, v5, s5, v3
	v_sub_u32_e32 v7, 0x3f1, v6
	v_or_b32_e32 v5, 0x1000, v3
	v_med3_i32 v7, v7, 0, 13
	v_lshrrev_b32_e32 v8, v7, v5
	v_lshlrev_b32_e32 v7, v7, v8
	v_cmp_ne_u32_e32 vcc, v7, v5
	v_cndmask_b32_e64 v5, 0, 1, vcc
	v_add_u32_e32 v7, 0xfffffc10, v6
	v_or_b32_e32 v5, v8, v5
	v_lshl_or_b32 v6, v7, 12, v3
	v_cmp_gt_i32_e32 vcc, 1, v7
	v_cndmask_b32_e32 v5, v6, v5, vcc
	v_and_b32_e32 v6, 7, v5
	v_cmp_lt_i32_e32 vcc, 5, v6
	v_cmp_eq_u32_e64 s[0:1], 3, v6
	v_lshrrev_b32_e32 v5, 2, v5
	s_or_b64 vcc, s[0:1], vcc
	v_addc_co_u32_e32 v8, vcc, 0, v5, vcc
	ds_read2_b32 v[5:6], v14 offset0:40 offset1:196
	v_cmp_gt_i32_e32 vcc, 31, v7
	v_cndmask_b32_e32 v8, v0, v8, vcc
	v_cmp_ne_u32_e32 vcc, 0, v3
	v_cndmask_b32_e64 v3, 0, 1, vcc
	s_waitcnt lgkmcnt(0)
	v_lshrrev_b32_e32 v10, 16, v5
	v_mul_f16_sdwa v11, v54, v10 dst_sel:DWORD dst_unused:UNUSED_PAD src0_sel:WORD_1 src1_sel:DWORD
	v_fma_f16 v11, v54, v5, v11
	v_cvt_f32_f16_e32 v11, v11
	v_lshl_or_b32 v3, v3, 9, v0
	v_cmp_eq_u32_e32 vcc, s10, v7
	v_cndmask_b32_e32 v3, v8, v3, vcc
	v_cvt_f64_f32_e32 v[7:8], v11
	v_lshrrev_b32_e32 v4, 16, v4
	v_and_or_b32 v11, v4, s11, v3
	v_add_co_u32_e32 v1, vcc, s7, v1
	v_mul_f64 v[3:4], v[7:8], s[2:3]
	v_mov_b32_e32 v8, s6
	v_and_b32_e32 v9, 0xffff, v9
	v_addc_co_u32_e32 v2, vcc, v2, v8, vcc
	v_lshl_or_b32 v7, v11, 16, v9
	global_store_dword v[1:2], v7, off
	v_mul_f16_sdwa v5, v54, v5 dst_sel:DWORD dst_unused:UNUSED_PAD src0_sel:WORD_1 src1_sel:DWORD
	v_and_or_b32 v3, v4, s4, v3
	v_cmp_ne_u32_e32 vcc, 0, v3
	v_cndmask_b32_e64 v3, 0, 1, vcc
	v_lshrrev_b32_e32 v7, 8, v4
	v_bfe_u32 v8, v4, 20, 11
	v_and_or_b32 v3, v7, s5, v3
	v_sub_u32_e32 v9, 0x3f1, v8
	v_or_b32_e32 v7, 0x1000, v3
	v_med3_i32 v9, v9, 0, 13
	v_lshrrev_b32_e32 v11, v9, v7
	v_lshlrev_b32_e32 v9, v9, v11
	v_cmp_ne_u32_e32 vcc, v9, v7
	v_fma_f16 v5, v54, v10, -v5
	v_cndmask_b32_e64 v7, 0, 1, vcc
	v_add_u32_e32 v9, 0xfffffc10, v8
	v_cvt_f32_f16_e32 v5, v5
	v_or_b32_e32 v7, v11, v7
	v_lshl_or_b32 v8, v9, 12, v3
	v_cmp_gt_i32_e32 vcc, 1, v9
	v_cndmask_b32_e32 v7, v8, v7, vcc
	v_and_b32_e32 v8, 7, v7
	v_cmp_lt_i32_e32 vcc, 5, v8
	v_cmp_eq_u32_e64 s[0:1], 3, v8
	v_lshrrev_b32_e32 v10, 2, v7
	v_cvt_f64_f32_e32 v[7:8], v5
	s_or_b64 vcc, s[0:1], vcc
	v_addc_co_u32_e32 v5, vcc, 0, v10, vcc
	v_mul_f64 v[7:8], v[7:8], s[2:3]
	v_cmp_gt_i32_e32 vcc, 31, v9
	v_cndmask_b32_e32 v5, v0, v5, vcc
	v_cmp_ne_u32_e32 vcc, 0, v3
	v_cndmask_b32_e64 v3, 0, 1, vcc
	v_lshl_or_b32 v3, v3, 9, v0
	v_cmp_eq_u32_e32 vcc, s10, v9
	v_cndmask_b32_e32 v3, v5, v3, vcc
	v_lshrrev_b32_e32 v4, 16, v4
	v_and_or_b32 v5, v4, s11, v3
	v_and_or_b32 v3, v8, s4, v7
	v_cmp_ne_u32_e32 vcc, 0, v3
	v_cndmask_b32_e64 v3, 0, 1, vcc
	v_lshrrev_b32_e32 v4, 8, v8
	v_bfe_u32 v7, v8, 20, 11
	v_and_or_b32 v3, v4, s5, v3
	v_sub_u32_e32 v9, 0x3f1, v7
	v_or_b32_e32 v4, 0x1000, v3
	v_med3_i32 v9, v9, 0, 13
	v_lshrrev_b32_e32 v10, v9, v4
	v_lshlrev_b32_e32 v9, v9, v10
	v_cmp_ne_u32_e32 vcc, v9, v4
	v_cndmask_b32_e64 v4, 0, 1, vcc
	v_add_u32_e32 v7, 0xfffffc10, v7
	v_or_b32_e32 v4, v10, v4
	v_lshl_or_b32 v9, v7, 12, v3
	v_cmp_gt_i32_e32 vcc, 1, v7
	v_cndmask_b32_e32 v4, v9, v4, vcc
	v_and_b32_e32 v9, 7, v4
	v_cmp_lt_i32_e32 vcc, 5, v9
	v_cmp_eq_u32_e64 s[0:1], 3, v9
	v_lshrrev_b32_e32 v9, 16, v6
	v_lshrrev_b32_e32 v4, 2, v4
	s_or_b64 vcc, s[0:1], vcc
	v_mul_f16_sdwa v10, v53, v9 dst_sel:DWORD dst_unused:UNUSED_PAD src0_sel:WORD_1 src1_sel:DWORD
	v_addc_co_u32_e32 v4, vcc, 0, v4, vcc
	v_fma_f16 v10, v53, v6, v10
	v_cmp_gt_i32_e32 vcc, 31, v7
	v_cvt_f32_f16_e32 v10, v10
	v_cndmask_b32_e32 v4, v0, v4, vcc
	v_cmp_ne_u32_e32 vcc, 0, v3
	v_cndmask_b32_e64 v3, 0, 1, vcc
	v_lshl_or_b32 v3, v3, 9, v0
	v_cmp_eq_u32_e32 vcc, s10, v7
	v_cndmask_b32_e32 v7, v4, v3, vcc
	v_cvt_f64_f32_e32 v[3:4], v10
	v_lshrrev_b32_e32 v8, 16, v8
	v_and_or_b32 v7, v8, s11, v7
	v_and_b32_e32 v5, 0xffff, v5
	v_mul_f64 v[3:4], v[3:4], s[2:3]
	v_lshl_or_b32 v5, v7, 16, v5
	v_mov_b32_e32 v7, s6
	v_add_co_u32_e32 v1, vcc, s7, v1
	v_addc_co_u32_e32 v2, vcc, v2, v7, vcc
	global_store_dword v[1:2], v5, off
	v_and_or_b32 v3, v4, s4, v3
	v_cmp_ne_u32_e32 vcc, 0, v3
	v_cndmask_b32_e64 v3, 0, 1, vcc
	v_lshrrev_b32_e32 v5, 8, v4
	v_bfe_u32 v7, v4, 20, 11
	v_and_or_b32 v3, v5, s5, v3
	v_sub_u32_e32 v8, 0x3f1, v7
	v_or_b32_e32 v5, 0x1000, v3
	v_med3_i32 v8, v8, 0, 13
	v_lshrrev_b32_e32 v10, v8, v5
	v_lshlrev_b32_e32 v8, v8, v10
	v_mul_f16_sdwa v6, v53, v6 dst_sel:DWORD dst_unused:UNUSED_PAD src0_sel:WORD_1 src1_sel:DWORD
	v_cmp_ne_u32_e32 vcc, v8, v5
	v_fma_f16 v6, v53, v9, -v6
	v_cndmask_b32_e64 v5, 0, 1, vcc
	v_add_u32_e32 v7, 0xfffffc10, v7
	v_cvt_f32_f16_e32 v6, v6
	v_or_b32_e32 v5, v10, v5
	v_lshl_or_b32 v8, v7, 12, v3
	v_cmp_gt_i32_e32 vcc, 1, v7
	v_cndmask_b32_e32 v5, v8, v5, vcc
	v_and_b32_e32 v8, 7, v5
	v_cmp_lt_i32_e32 vcc, 5, v8
	v_cmp_eq_u32_e64 s[0:1], 3, v8
	v_lshrrev_b32_e32 v8, 2, v5
	v_cvt_f64_f32_e32 v[5:6], v6
	s_or_b64 vcc, s[0:1], vcc
	v_addc_co_u32_e32 v8, vcc, 0, v8, vcc
	v_mul_f64 v[5:6], v[5:6], s[2:3]
	v_cmp_gt_i32_e32 vcc, 31, v7
	v_cndmask_b32_e32 v8, v0, v8, vcc
	v_cmp_ne_u32_e32 vcc, 0, v3
	v_cndmask_b32_e64 v3, 0, 1, vcc
	v_lshl_or_b32 v3, v3, 9, v0
	v_cmp_eq_u32_e32 vcc, s10, v7
	v_cndmask_b32_e32 v3, v8, v3, vcc
	v_lshrrev_b32_e32 v4, 16, v4
	v_and_or_b32 v9, v4, s11, v3
	v_and_or_b32 v3, v6, s4, v5
	v_cmp_ne_u32_e32 vcc, 0, v3
	v_cndmask_b32_e64 v3, 0, 1, vcc
	v_lshrrev_b32_e32 v4, 8, v6
	v_and_or_b32 v5, v4, s5, v3
	v_bfe_u32 v4, v6, 20, 11
	v_sub_u32_e32 v7, 0x3f1, v4
	v_or_b32_e32 v3, 0x1000, v5
	v_med3_i32 v7, v7, 0, 13
	v_lshrrev_b32_e32 v8, v7, v3
	v_lshlrev_b32_e32 v7, v7, v8
	v_cmp_ne_u32_e32 vcc, v7, v3
	v_cndmask_b32_e64 v3, 0, 1, vcc
	v_add_u32_e32 v7, 0xfffffc10, v4
	v_or_b32_e32 v3, v8, v3
	v_lshl_or_b32 v4, v7, 12, v5
	v_cmp_gt_i32_e32 vcc, 1, v7
	v_cndmask_b32_e32 v3, v4, v3, vcc
	v_and_b32_e32 v4, 7, v3
	v_cmp_lt_i32_e32 vcc, 5, v4
	v_cmp_eq_u32_e64 s[0:1], 3, v4
	v_lshrrev_b32_e32 v3, 2, v3
	s_or_b64 vcc, s[0:1], vcc
	v_addc_co_u32_e32 v8, vcc, 0, v3, vcc
	ds_read2_b32 v[3:4], v13 offset0:96 offset1:252
	v_cmp_gt_i32_e32 vcc, 31, v7
	v_cndmask_b32_e32 v8, v0, v8, vcc
	v_cmp_ne_u32_e32 vcc, 0, v5
	v_cndmask_b32_e64 v5, 0, 1, vcc
	s_waitcnt lgkmcnt(0)
	v_lshrrev_b32_e32 v10, 16, v3
	v_mul_f16_sdwa v11, v52, v10 dst_sel:DWORD dst_unused:UNUSED_PAD src0_sel:WORD_1 src1_sel:DWORD
	v_fma_f16 v11, v52, v3, v11
	v_cvt_f32_f16_e32 v11, v11
	v_lshl_or_b32 v5, v5, 9, v0
	v_cmp_eq_u32_e32 vcc, s10, v7
	v_cndmask_b32_e32 v5, v8, v5, vcc
	v_cvt_f64_f32_e32 v[7:8], v11
	v_lshrrev_b32_e32 v6, 16, v6
	v_and_or_b32 v11, v6, s11, v5
	v_add_co_u32_e32 v1, vcc, s7, v1
	v_mul_f64 v[5:6], v[7:8], s[2:3]
	v_mov_b32_e32 v8, s6
	v_and_b32_e32 v9, 0xffff, v9
	v_addc_co_u32_e32 v2, vcc, v2, v8, vcc
	v_lshl_or_b32 v7, v11, 16, v9
	global_store_dword v[1:2], v7, off
	v_mul_f16_sdwa v3, v52, v3 dst_sel:DWORD dst_unused:UNUSED_PAD src0_sel:WORD_1 src1_sel:DWORD
	v_and_or_b32 v5, v6, s4, v5
	v_cmp_ne_u32_e32 vcc, 0, v5
	v_cndmask_b32_e64 v5, 0, 1, vcc
	v_lshrrev_b32_e32 v7, 8, v6
	v_bfe_u32 v8, v6, 20, 11
	v_and_or_b32 v5, v7, s5, v5
	v_sub_u32_e32 v9, 0x3f1, v8
	v_or_b32_e32 v7, 0x1000, v5
	v_med3_i32 v9, v9, 0, 13
	v_lshrrev_b32_e32 v11, v9, v7
	v_lshlrev_b32_e32 v9, v9, v11
	v_cmp_ne_u32_e32 vcc, v9, v7
	v_fma_f16 v3, v52, v10, -v3
	v_cndmask_b32_e64 v7, 0, 1, vcc
	v_add_u32_e32 v9, 0xfffffc10, v8
	v_cvt_f32_f16_e32 v3, v3
	v_or_b32_e32 v7, v11, v7
	v_lshl_or_b32 v8, v9, 12, v5
	v_cmp_gt_i32_e32 vcc, 1, v9
	v_cndmask_b32_e32 v7, v8, v7, vcc
	v_and_b32_e32 v8, 7, v7
	v_cmp_lt_i32_e32 vcc, 5, v8
	v_cmp_eq_u32_e64 s[0:1], 3, v8
	v_lshrrev_b32_e32 v10, 2, v7
	v_cvt_f64_f32_e32 v[7:8], v3
	s_or_b64 vcc, s[0:1], vcc
	v_addc_co_u32_e32 v3, vcc, 0, v10, vcc
	v_mul_f64 v[7:8], v[7:8], s[2:3]
	v_cmp_gt_i32_e32 vcc, 31, v9
	v_cndmask_b32_e32 v3, v0, v3, vcc
	v_cmp_ne_u32_e32 vcc, 0, v5
	v_cndmask_b32_e64 v5, 0, 1, vcc
	v_lshl_or_b32 v5, v5, 9, v0
	v_cmp_eq_u32_e32 vcc, s10, v9
	v_cndmask_b32_e32 v3, v3, v5, vcc
	v_lshrrev_b32_e32 v5, 16, v6
	v_and_or_b32 v3, v5, s11, v3
	v_and_or_b32 v5, v8, s4, v7
	v_cmp_ne_u32_e32 vcc, 0, v5
	v_cndmask_b32_e64 v5, 0, 1, vcc
	v_lshrrev_b32_e32 v6, 8, v8
	v_bfe_u32 v7, v8, 20, 11
	v_and_or_b32 v5, v6, s5, v5
	v_sub_u32_e32 v9, 0x3f1, v7
	v_or_b32_e32 v6, 0x1000, v5
	v_med3_i32 v9, v9, 0, 13
	v_lshrrev_b32_e32 v10, v9, v6
	v_lshlrev_b32_e32 v9, v9, v10
	v_cmp_ne_u32_e32 vcc, v9, v6
	v_cndmask_b32_e64 v6, 0, 1, vcc
	v_add_u32_e32 v7, 0xfffffc10, v7
	v_or_b32_e32 v6, v10, v6
	v_lshl_or_b32 v9, v7, 12, v5
	v_cmp_gt_i32_e32 vcc, 1, v7
	v_cndmask_b32_e32 v6, v9, v6, vcc
	v_and_b32_e32 v9, 7, v6
	v_cmp_lt_i32_e32 vcc, 5, v9
	v_cmp_eq_u32_e64 s[0:1], 3, v9
	v_lshrrev_b32_e32 v9, 16, v4
	v_lshrrev_b32_e32 v6, 2, v6
	s_or_b64 vcc, s[0:1], vcc
	v_mul_f16_sdwa v10, v51, v9 dst_sel:DWORD dst_unused:UNUSED_PAD src0_sel:WORD_1 src1_sel:DWORD
	v_addc_co_u32_e32 v6, vcc, 0, v6, vcc
	v_fma_f16 v10, v51, v4, v10
	v_cmp_gt_i32_e32 vcc, 31, v7
	v_cvt_f32_f16_e32 v10, v10
	v_cndmask_b32_e32 v6, v0, v6, vcc
	v_cmp_ne_u32_e32 vcc, 0, v5
	v_cndmask_b32_e64 v5, 0, 1, vcc
	v_lshl_or_b32 v5, v5, 9, v0
	v_cmp_eq_u32_e32 vcc, s10, v7
	v_cndmask_b32_e32 v7, v6, v5, vcc
	v_cvt_f64_f32_e32 v[5:6], v10
	v_lshrrev_b32_e32 v8, 16, v8
	v_and_or_b32 v7, v8, s11, v7
	v_and_b32_e32 v3, 0xffff, v3
	v_mul_f64 v[5:6], v[5:6], s[2:3]
	v_lshl_or_b32 v3, v7, 16, v3
	v_mov_b32_e32 v7, s6
	v_add_co_u32_e32 v1, vcc, s7, v1
	v_addc_co_u32_e32 v2, vcc, v2, v7, vcc
	global_store_dword v[1:2], v3, off
	v_and_or_b32 v3, v6, s4, v5
	v_cmp_ne_u32_e32 vcc, 0, v3
	v_cndmask_b32_e64 v3, 0, 1, vcc
	v_lshrrev_b32_e32 v5, 8, v6
	v_bfe_u32 v7, v6, 20, 11
	v_and_or_b32 v5, v5, s5, v3
	v_sub_u32_e32 v8, 0x3f1, v7
	v_or_b32_e32 v3, 0x1000, v5
	v_med3_i32 v8, v8, 0, 13
	v_lshrrev_b32_e32 v10, v8, v3
	v_lshlrev_b32_e32 v8, v8, v10
	v_mul_f16_sdwa v4, v51, v4 dst_sel:DWORD dst_unused:UNUSED_PAD src0_sel:WORD_1 src1_sel:DWORD
	v_cmp_ne_u32_e32 vcc, v8, v3
	v_fma_f16 v4, v51, v9, -v4
	v_cndmask_b32_e64 v3, 0, 1, vcc
	v_add_u32_e32 v7, 0xfffffc10, v7
	v_cvt_f32_f16_e32 v4, v4
	v_or_b32_e32 v3, v10, v3
	v_lshl_or_b32 v8, v7, 12, v5
	v_cmp_gt_i32_e32 vcc, 1, v7
	v_cndmask_b32_e32 v3, v8, v3, vcc
	v_and_b32_e32 v8, 7, v3
	v_cmp_lt_i32_e32 vcc, 5, v8
	v_cmp_eq_u32_e64 s[0:1], 3, v8
	v_lshrrev_b32_e32 v8, 2, v3
	v_cvt_f64_f32_e32 v[3:4], v4
	s_or_b64 vcc, s[0:1], vcc
	v_addc_co_u32_e32 v8, vcc, 0, v8, vcc
	v_mul_f64 v[3:4], v[3:4], s[2:3]
	v_cmp_gt_i32_e32 vcc, 31, v7
	v_cndmask_b32_e32 v8, v0, v8, vcc
	v_cmp_ne_u32_e32 vcc, 0, v5
	v_cndmask_b32_e64 v5, 0, 1, vcc
	v_lshl_or_b32 v5, v5, 9, v0
	v_cmp_eq_u32_e32 vcc, s10, v7
	v_cndmask_b32_e32 v5, v8, v5, vcc
	v_and_or_b32 v3, v4, s4, v3
	v_lshrrev_b32_e32 v6, 16, v6
	v_cmp_ne_u32_e32 vcc, 0, v3
	v_and_or_b32 v9, v6, s11, v5
	v_cndmask_b32_e64 v3, 0, 1, vcc
	v_lshrrev_b32_e32 v5, 8, v4
	v_bfe_u32 v6, v4, 20, 11
	v_and_or_b32 v3, v5, s5, v3
	v_sub_u32_e32 v7, 0x3f1, v6
	v_or_b32_e32 v5, 0x1000, v3
	v_med3_i32 v7, v7, 0, 13
	v_lshrrev_b32_e32 v8, v7, v5
	v_lshlrev_b32_e32 v7, v7, v8
	v_cmp_ne_u32_e32 vcc, v7, v5
	v_cndmask_b32_e64 v5, 0, 1, vcc
	v_add_u32_e32 v7, 0xfffffc10, v6
	v_or_b32_e32 v5, v8, v5
	v_lshl_or_b32 v6, v7, 12, v3
	v_cmp_gt_i32_e32 vcc, 1, v7
	v_cndmask_b32_e32 v5, v6, v5, vcc
	v_and_b32_e32 v6, 7, v5
	v_cmp_lt_i32_e32 vcc, 5, v6
	v_cmp_eq_u32_e64 s[0:1], 3, v6
	v_lshrrev_b32_e32 v5, 2, v5
	s_or_b64 vcc, s[0:1], vcc
	v_addc_co_u32_e32 v8, vcc, 0, v5, vcc
	ds_read2_b32 v[5:6], v12 offset0:24 offset1:180
	v_cmp_gt_i32_e32 vcc, 31, v7
	v_cndmask_b32_e32 v8, v0, v8, vcc
	v_cmp_ne_u32_e32 vcc, 0, v3
	v_cndmask_b32_e64 v3, 0, 1, vcc
	s_waitcnt lgkmcnt(0)
	v_lshrrev_b32_e32 v10, 16, v5
	v_mul_f16_sdwa v11, v50, v10 dst_sel:DWORD dst_unused:UNUSED_PAD src0_sel:WORD_1 src1_sel:DWORD
	v_fma_f16 v11, v50, v5, v11
	v_cvt_f32_f16_e32 v11, v11
	v_lshl_or_b32 v3, v3, 9, v0
	v_cmp_eq_u32_e32 vcc, s10, v7
	v_cndmask_b32_e32 v3, v8, v3, vcc
	v_cvt_f64_f32_e32 v[7:8], v11
	v_lshrrev_b32_e32 v4, 16, v4
	v_and_or_b32 v11, v4, s11, v3
	v_add_co_u32_e32 v1, vcc, s7, v1
	v_mul_f64 v[3:4], v[7:8], s[2:3]
	v_mov_b32_e32 v8, s6
	v_and_b32_e32 v9, 0xffff, v9
	v_addc_co_u32_e32 v2, vcc, v2, v8, vcc
	v_lshl_or_b32 v7, v11, 16, v9
	global_store_dword v[1:2], v7, off
	v_mul_f16_sdwa v5, v50, v5 dst_sel:DWORD dst_unused:UNUSED_PAD src0_sel:WORD_1 src1_sel:DWORD
	v_and_or_b32 v3, v4, s4, v3
	v_cmp_ne_u32_e32 vcc, 0, v3
	v_cndmask_b32_e64 v3, 0, 1, vcc
	v_lshrrev_b32_e32 v7, 8, v4
	v_bfe_u32 v8, v4, 20, 11
	v_and_or_b32 v3, v7, s5, v3
	v_sub_u32_e32 v9, 0x3f1, v8
	v_or_b32_e32 v7, 0x1000, v3
	v_med3_i32 v9, v9, 0, 13
	v_lshrrev_b32_e32 v11, v9, v7
	v_lshlrev_b32_e32 v9, v9, v11
	v_cmp_ne_u32_e32 vcc, v9, v7
	v_fma_f16 v5, v50, v10, -v5
	v_cndmask_b32_e64 v7, 0, 1, vcc
	v_add_u32_e32 v9, 0xfffffc10, v8
	v_cvt_f32_f16_e32 v5, v5
	v_or_b32_e32 v7, v11, v7
	v_lshl_or_b32 v8, v9, 12, v3
	v_cmp_gt_i32_e32 vcc, 1, v9
	v_cndmask_b32_e32 v7, v8, v7, vcc
	v_and_b32_e32 v8, 7, v7
	v_cmp_lt_i32_e32 vcc, 5, v8
	v_cmp_eq_u32_e64 s[0:1], 3, v8
	v_lshrrev_b32_e32 v10, 2, v7
	v_cvt_f64_f32_e32 v[7:8], v5
	s_or_b64 vcc, s[0:1], vcc
	v_addc_co_u32_e32 v5, vcc, 0, v10, vcc
	v_mul_f64 v[7:8], v[7:8], s[2:3]
	v_cmp_gt_i32_e32 vcc, 31, v9
	v_cndmask_b32_e32 v5, v0, v5, vcc
	v_cmp_ne_u32_e32 vcc, 0, v3
	v_cndmask_b32_e64 v3, 0, 1, vcc
	v_lshl_or_b32 v3, v3, 9, v0
	v_cmp_eq_u32_e32 vcc, s10, v9
	v_cndmask_b32_e32 v3, v5, v3, vcc
	v_lshrrev_b32_e32 v4, 16, v4
	v_and_or_b32 v5, v4, s11, v3
	v_and_or_b32 v3, v8, s4, v7
	v_cmp_ne_u32_e32 vcc, 0, v3
	v_cndmask_b32_e64 v3, 0, 1, vcc
	v_lshrrev_b32_e32 v4, 8, v8
	v_bfe_u32 v7, v8, 20, 11
	v_and_or_b32 v3, v4, s5, v3
	v_sub_u32_e32 v9, 0x3f1, v7
	v_or_b32_e32 v4, 0x1000, v3
	v_med3_i32 v9, v9, 0, 13
	v_lshrrev_b32_e32 v10, v9, v4
	v_lshlrev_b32_e32 v9, v9, v10
	v_cmp_ne_u32_e32 vcc, v9, v4
	v_cndmask_b32_e64 v4, 0, 1, vcc
	v_add_u32_e32 v7, 0xfffffc10, v7
	v_or_b32_e32 v4, v10, v4
	v_lshl_or_b32 v9, v7, 12, v3
	v_cmp_gt_i32_e32 vcc, 1, v7
	v_cndmask_b32_e32 v4, v9, v4, vcc
	v_and_b32_e32 v9, 7, v4
	v_cmp_lt_i32_e32 vcc, 5, v9
	v_cmp_eq_u32_e64 s[0:1], 3, v9
	v_lshrrev_b32_e32 v9, 16, v6
	v_lshrrev_b32_e32 v4, 2, v4
	s_or_b64 vcc, s[0:1], vcc
	v_mul_f16_sdwa v10, v49, v9 dst_sel:DWORD dst_unused:UNUSED_PAD src0_sel:WORD_1 src1_sel:DWORD
	v_addc_co_u32_e32 v4, vcc, 0, v4, vcc
	v_fma_f16 v10, v49, v6, v10
	v_cmp_gt_i32_e32 vcc, 31, v7
	v_cvt_f32_f16_e32 v10, v10
	v_cndmask_b32_e32 v4, v0, v4, vcc
	v_cmp_ne_u32_e32 vcc, 0, v3
	v_cndmask_b32_e64 v3, 0, 1, vcc
	v_lshl_or_b32 v3, v3, 9, v0
	v_cmp_eq_u32_e32 vcc, s10, v7
	v_cndmask_b32_e32 v7, v4, v3, vcc
	v_cvt_f64_f32_e32 v[3:4], v10
	v_lshrrev_b32_e32 v8, 16, v8
	v_and_or_b32 v7, v8, s11, v7
	v_and_b32_e32 v5, 0xffff, v5
	v_mul_f64 v[3:4], v[3:4], s[2:3]
	v_lshl_or_b32 v5, v7, 16, v5
	v_mov_b32_e32 v7, s6
	v_add_co_u32_e32 v1, vcc, s7, v1
	v_addc_co_u32_e32 v2, vcc, v2, v7, vcc
	global_store_dword v[1:2], v5, off
	v_and_or_b32 v3, v4, s4, v3
	v_cmp_ne_u32_e32 vcc, 0, v3
	v_cndmask_b32_e64 v3, 0, 1, vcc
	v_lshrrev_b32_e32 v5, 8, v4
	v_bfe_u32 v7, v4, 20, 11
	v_and_or_b32 v3, v5, s5, v3
	v_sub_u32_e32 v8, 0x3f1, v7
	v_or_b32_e32 v5, 0x1000, v3
	v_med3_i32 v8, v8, 0, 13
	v_lshrrev_b32_e32 v10, v8, v5
	v_lshlrev_b32_e32 v8, v8, v10
	v_mul_f16_sdwa v6, v49, v6 dst_sel:DWORD dst_unused:UNUSED_PAD src0_sel:WORD_1 src1_sel:DWORD
	v_cmp_ne_u32_e32 vcc, v8, v5
	v_fma_f16 v6, v49, v9, -v6
	v_cndmask_b32_e64 v5, 0, 1, vcc
	v_add_u32_e32 v7, 0xfffffc10, v7
	v_cvt_f32_f16_e32 v6, v6
	v_or_b32_e32 v5, v10, v5
	v_lshl_or_b32 v8, v7, 12, v3
	v_cmp_gt_i32_e32 vcc, 1, v7
	v_cndmask_b32_e32 v5, v8, v5, vcc
	v_and_b32_e32 v8, 7, v5
	v_cmp_lt_i32_e32 vcc, 5, v8
	v_cmp_eq_u32_e64 s[0:1], 3, v8
	v_lshrrev_b32_e32 v8, 2, v5
	v_cvt_f64_f32_e32 v[5:6], v6
	s_or_b64 vcc, s[0:1], vcc
	v_addc_co_u32_e32 v8, vcc, 0, v8, vcc
	v_mul_f64 v[5:6], v[5:6], s[2:3]
	v_cmp_gt_i32_e32 vcc, 31, v7
	v_cndmask_b32_e32 v8, v0, v8, vcc
	v_cmp_ne_u32_e32 vcc, 0, v3
	v_cndmask_b32_e64 v3, 0, 1, vcc
	v_lshl_or_b32 v3, v3, 9, v0
	v_cmp_eq_u32_e32 vcc, s10, v7
	v_cndmask_b32_e32 v3, v8, v3, vcc
	v_lshrrev_b32_e32 v4, 16, v4
	v_and_or_b32 v7, v4, s11, v3
	v_and_or_b32 v3, v6, s4, v5
	v_cmp_ne_u32_e32 vcc, 0, v3
	v_cndmask_b32_e64 v3, 0, 1, vcc
	v_lshrrev_b32_e32 v4, 8, v6
	v_bfe_u32 v5, v6, 20, 11
	v_and_or_b32 v3, v4, s5, v3
	v_sub_u32_e32 v8, 0x3f1, v5
	v_or_b32_e32 v4, 0x1000, v3
	v_med3_i32 v8, v8, 0, 13
	v_lshrrev_b32_e32 v9, v8, v4
	v_lshlrev_b32_e32 v8, v8, v9
	v_cmp_ne_u32_e32 vcc, v8, v4
	v_cndmask_b32_e64 v4, 0, 1, vcc
	v_add_u32_e32 v5, 0xfffffc10, v5
	v_or_b32_e32 v4, v9, v4
	v_lshl_or_b32 v8, v5, 12, v3
	v_cmp_gt_i32_e32 vcc, 1, v5
	v_cndmask_b32_e32 v4, v8, v4, vcc
	v_and_b32_e32 v8, 7, v4
	v_cmp_lt_i32_e32 vcc, 5, v8
	v_cmp_eq_u32_e64 s[0:1], 3, v8
	ds_read_b32 v8, v47 offset:7488
	v_lshrrev_b32_e32 v4, 2, v4
	s_or_b64 vcc, s[0:1], vcc
	v_addc_co_u32_e32 v4, vcc, 0, v4, vcc
	s_waitcnt lgkmcnt(0)
	v_lshrrev_b32_e32 v9, 16, v8
	v_mul_f16_sdwa v10, v48, v9 dst_sel:DWORD dst_unused:UNUSED_PAD src0_sel:WORD_1 src1_sel:DWORD
	v_fma_f16 v10, v48, v8, v10
	v_cmp_gt_i32_e32 vcc, 31, v5
	v_cvt_f32_f16_e32 v10, v10
	v_cndmask_b32_e32 v4, v0, v4, vcc
	v_cmp_ne_u32_e32 vcc, 0, v3
	v_cndmask_b32_e64 v3, 0, 1, vcc
	v_lshl_or_b32 v3, v3, 9, v0
	v_cmp_eq_u32_e32 vcc, s10, v5
	v_cndmask_b32_e32 v5, v4, v3, vcc
	v_cvt_f64_f32_e32 v[3:4], v10
	v_lshrrev_b32_e32 v6, 16, v6
	v_and_or_b32 v5, v6, s11, v5
	v_and_b32_e32 v6, 0xffff, v7
	v_mul_f64 v[3:4], v[3:4], s[2:3]
	v_lshl_or_b32 v5, v5, 16, v6
	v_mov_b32_e32 v6, s6
	v_add_co_u32_e32 v1, vcc, s7, v1
	v_addc_co_u32_e32 v2, vcc, v2, v6, vcc
	global_store_dword v[1:2], v5, off
	v_and_or_b32 v3, v4, s4, v3
	v_cmp_ne_u32_e32 vcc, 0, v3
	v_cndmask_b32_e64 v3, 0, 1, vcc
	v_lshrrev_b32_e32 v5, 8, v4
	v_bfe_u32 v6, v4, 20, 11
	v_and_or_b32 v3, v5, s5, v3
	v_sub_u32_e32 v7, 0x3f1, v6
	v_or_b32_e32 v5, 0x1000, v3
	v_med3_i32 v7, v7, 0, 13
	v_lshrrev_b32_e32 v10, v7, v5
	v_lshlrev_b32_e32 v7, v7, v10
	v_mul_f16_sdwa v8, v48, v8 dst_sel:DWORD dst_unused:UNUSED_PAD src0_sel:WORD_1 src1_sel:DWORD
	v_cmp_ne_u32_e32 vcc, v7, v5
	v_fma_f16 v8, v48, v9, -v8
	v_cndmask_b32_e64 v5, 0, 1, vcc
	v_add_u32_e32 v7, 0xfffffc10, v6
	v_cvt_f32_f16_e32 v8, v8
	v_or_b32_e32 v5, v10, v5
	v_lshl_or_b32 v6, v7, 12, v3
	v_cmp_gt_i32_e32 vcc, 1, v7
	v_cndmask_b32_e32 v5, v6, v5, vcc
	v_and_b32_e32 v6, 7, v5
	v_cmp_lt_i32_e32 vcc, 5, v6
	v_cmp_eq_u32_e64 s[0:1], 3, v6
	v_lshrrev_b32_e32 v9, 2, v5
	v_cvt_f64_f32_e32 v[5:6], v8
	s_or_b64 vcc, s[0:1], vcc
	v_addc_co_u32_e32 v8, vcc, 0, v9, vcc
	v_mul_f64 v[5:6], v[5:6], s[2:3]
	v_cmp_gt_i32_e32 vcc, 31, v7
	v_cndmask_b32_e32 v8, v0, v8, vcc
	v_cmp_ne_u32_e32 vcc, 0, v3
	v_cndmask_b32_e64 v3, 0, 1, vcc
	v_lshl_or_b32 v3, v3, 9, v0
	v_cmp_eq_u32_e32 vcc, s10, v7
	v_cndmask_b32_e32 v3, v8, v3, vcc
	v_lshrrev_b32_e32 v4, 16, v4
	v_and_or_b32 v3, v4, s11, v3
	v_and_or_b32 v4, v6, s4, v5
	v_cmp_ne_u32_e32 vcc, 0, v4
	v_cndmask_b32_e64 v4, 0, 1, vcc
	v_lshrrev_b32_e32 v5, 8, v6
	v_bfe_u32 v7, v6, 20, 11
	v_and_or_b32 v4, v5, s5, v4
	v_sub_u32_e32 v8, 0x3f1, v7
	v_or_b32_e32 v5, 0x1000, v4
	v_med3_i32 v8, v8, 0, 13
	v_lshrrev_b32_e32 v9, v8, v5
	v_lshlrev_b32_e32 v8, v8, v9
	v_cmp_ne_u32_e32 vcc, v8, v5
	v_cndmask_b32_e64 v5, 0, 1, vcc
	v_add_u32_e32 v7, 0xfffffc10, v7
	v_or_b32_e32 v5, v9, v5
	v_lshl_or_b32 v8, v7, 12, v4
	v_cmp_gt_i32_e32 vcc, 1, v7
	v_cndmask_b32_e32 v5, v8, v5, vcc
	v_and_b32_e32 v8, 7, v5
	v_cmp_lt_i32_e32 vcc, 5, v8
	v_cmp_eq_u32_e64 s[0:1], 3, v8
	v_lshrrev_b32_e32 v5, 2, v5
	s_or_b64 vcc, s[0:1], vcc
	v_addc_co_u32_e32 v5, vcc, 0, v5, vcc
	v_cmp_gt_i32_e32 vcc, 31, v7
	v_cndmask_b32_e32 v5, v0, v5, vcc
	v_cmp_ne_u32_e32 vcc, 0, v4
	v_cndmask_b32_e64 v4, 0, 1, vcc
	v_lshl_or_b32 v0, v4, 9, v0
	v_cmp_eq_u32_e32 vcc, s10, v7
	v_cndmask_b32_e32 v0, v5, v0, vcc
	v_lshrrev_b32_e32 v4, 16, v6
	v_and_or_b32 v0, v4, s11, v0
	v_and_b32_e32 v3, 0xffff, v3
	v_lshl_or_b32 v3, v0, 16, v3
	v_mov_b32_e32 v4, s6
	v_add_co_u32_e32 v0, vcc, s7, v1
	v_addc_co_u32_e32 v1, vcc, v2, v4, vcc
	global_store_dword v[0:1], v3, off
.LBB0_18:
	s_endpgm
	.section	.rodata,"a",@progbits
	.p2align	6, 0x0
	.amdhsa_kernel bluestein_single_back_len2028_dim1_half_op_CI_CI
		.amdhsa_group_segment_fixed_size 8112
		.amdhsa_private_segment_fixed_size 0
		.amdhsa_kernarg_size 104
		.amdhsa_user_sgpr_count 6
		.amdhsa_user_sgpr_private_segment_buffer 1
		.amdhsa_user_sgpr_dispatch_ptr 0
		.amdhsa_user_sgpr_queue_ptr 0
		.amdhsa_user_sgpr_kernarg_segment_ptr 1
		.amdhsa_user_sgpr_dispatch_id 0
		.amdhsa_user_sgpr_flat_scratch_init 0
		.amdhsa_user_sgpr_private_segment_size 0
		.amdhsa_uses_dynamic_stack 0
		.amdhsa_system_sgpr_private_segment_wavefront_offset 0
		.amdhsa_system_sgpr_workgroup_id_x 1
		.amdhsa_system_sgpr_workgroup_id_y 0
		.amdhsa_system_sgpr_workgroup_id_z 0
		.amdhsa_system_sgpr_workgroup_info 0
		.amdhsa_system_vgpr_workitem_id 0
		.amdhsa_next_free_vgpr 123
		.amdhsa_next_free_sgpr 27
		.amdhsa_reserve_vcc 1
		.amdhsa_reserve_flat_scratch 0
		.amdhsa_float_round_mode_32 0
		.amdhsa_float_round_mode_16_64 0
		.amdhsa_float_denorm_mode_32 3
		.amdhsa_float_denorm_mode_16_64 3
		.amdhsa_dx10_clamp 1
		.amdhsa_ieee_mode 1
		.amdhsa_fp16_overflow 0
		.amdhsa_exception_fp_ieee_invalid_op 0
		.amdhsa_exception_fp_denorm_src 0
		.amdhsa_exception_fp_ieee_div_zero 0
		.amdhsa_exception_fp_ieee_overflow 0
		.amdhsa_exception_fp_ieee_underflow 0
		.amdhsa_exception_fp_ieee_inexact 0
		.amdhsa_exception_int_div_zero 0
	.end_amdhsa_kernel
	.text
.Lfunc_end0:
	.size	bluestein_single_back_len2028_dim1_half_op_CI_CI, .Lfunc_end0-bluestein_single_back_len2028_dim1_half_op_CI_CI
                                        ; -- End function
	.section	.AMDGPU.csdata,"",@progbits
; Kernel info:
; codeLenInByte = 26436
; NumSgprs: 31
; NumVgprs: 123
; ScratchSize: 0
; MemoryBound: 0
; FloatMode: 240
; IeeeMode: 1
; LDSByteSize: 8112 bytes/workgroup (compile time only)
; SGPRBlocks: 3
; VGPRBlocks: 30
; NumSGPRsForWavesPerEU: 31
; NumVGPRsForWavesPerEU: 123
; Occupancy: 2
; WaveLimiterHint : 1
; COMPUTE_PGM_RSRC2:SCRATCH_EN: 0
; COMPUTE_PGM_RSRC2:USER_SGPR: 6
; COMPUTE_PGM_RSRC2:TRAP_HANDLER: 0
; COMPUTE_PGM_RSRC2:TGID_X_EN: 1
; COMPUTE_PGM_RSRC2:TGID_Y_EN: 0
; COMPUTE_PGM_RSRC2:TGID_Z_EN: 0
; COMPUTE_PGM_RSRC2:TIDIG_COMP_CNT: 0
	.type	__hip_cuid_2abbd7bf75805caa,@object ; @__hip_cuid_2abbd7bf75805caa
	.section	.bss,"aw",@nobits
	.globl	__hip_cuid_2abbd7bf75805caa
__hip_cuid_2abbd7bf75805caa:
	.byte	0                               ; 0x0
	.size	__hip_cuid_2abbd7bf75805caa, 1

	.ident	"AMD clang version 19.0.0git (https://github.com/RadeonOpenCompute/llvm-project roc-6.4.0 25133 c7fe45cf4b819c5991fe208aaa96edf142730f1d)"
	.section	".note.GNU-stack","",@progbits
	.addrsig
	.addrsig_sym __hip_cuid_2abbd7bf75805caa
	.amdgpu_metadata
---
amdhsa.kernels:
  - .args:
      - .actual_access:  read_only
        .address_space:  global
        .offset:         0
        .size:           8
        .value_kind:     global_buffer
      - .actual_access:  read_only
        .address_space:  global
        .offset:         8
        .size:           8
        .value_kind:     global_buffer
      - .actual_access:  read_only
        .address_space:  global
        .offset:         16
        .size:           8
        .value_kind:     global_buffer
      - .actual_access:  read_only
        .address_space:  global
        .offset:         24
        .size:           8
        .value_kind:     global_buffer
      - .actual_access:  read_only
        .address_space:  global
        .offset:         32
        .size:           8
        .value_kind:     global_buffer
      - .offset:         40
        .size:           8
        .value_kind:     by_value
      - .address_space:  global
        .offset:         48
        .size:           8
        .value_kind:     global_buffer
      - .address_space:  global
        .offset:         56
        .size:           8
        .value_kind:     global_buffer
      - .address_space:  global
        .offset:         64
        .size:           8
        .value_kind:     global_buffer
      - .address_space:  global
        .offset:         72
        .size:           8
        .value_kind:     global_buffer
      - .offset:         80
        .size:           4
        .value_kind:     by_value
      - .address_space:  global
        .offset:         88
        .size:           8
        .value_kind:     global_buffer
      - .address_space:  global
        .offset:         96
        .size:           8
        .value_kind:     global_buffer
    .group_segment_fixed_size: 8112
    .kernarg_segment_align: 8
    .kernarg_segment_size: 104
    .language:       OpenCL C
    .language_version:
      - 2
      - 0
    .max_flat_workgroup_size: 156
    .name:           bluestein_single_back_len2028_dim1_half_op_CI_CI
    .private_segment_fixed_size: 0
    .sgpr_count:     31
    .sgpr_spill_count: 0
    .symbol:         bluestein_single_back_len2028_dim1_half_op_CI_CI.kd
    .uniform_work_group_size: 1
    .uses_dynamic_stack: false
    .vgpr_count:     123
    .vgpr_spill_count: 0
    .wavefront_size: 64
amdhsa.target:   amdgcn-amd-amdhsa--gfx906
amdhsa.version:
  - 1
  - 2
...

	.end_amdgpu_metadata
